;; amdgpu-corpus repo=ROCm/rocFFT kind=compiled arch=gfx1201 opt=O3
	.text
	.amdgcn_target "amdgcn-amd-amdhsa--gfx1201"
	.amdhsa_code_object_version 6
	.protected	bluestein_single_back_len884_dim1_sp_op_CI_CI ; -- Begin function bluestein_single_back_len884_dim1_sp_op_CI_CI
	.globl	bluestein_single_back_len884_dim1_sp_op_CI_CI
	.p2align	8
	.type	bluestein_single_back_len884_dim1_sp_op_CI_CI,@function
bluestein_single_back_len884_dim1_sp_op_CI_CI: ; @bluestein_single_back_len884_dim1_sp_op_CI_CI
; %bb.0:
	s_load_b128 s[12:15], s[0:1], 0x28
	v_mul_u32_u24_e32 v1, 0x3c4, v0
	s_mov_b32 s2, exec_lo
	s_delay_alu instid0(VALU_DEP_1) | instskip(NEXT) | instid1(VALU_DEP_1)
	v_lshrrev_b32_e32 v1, 16, v1
	v_mad_co_u64_u32 v[80:81], null, ttmp9, 3, v[1:2]
	v_mov_b32_e32 v81, 0
                                        ; kill: def $vgpr2 killed $sgpr0 killed $exec
	s_wait_kmcnt 0x0
	s_delay_alu instid0(VALU_DEP_1)
	v_cmpx_gt_u64_e64 s[12:13], v[80:81]
	s_cbranch_execz .LBB0_18
; %bb.1:
	s_clause 0x1
	s_load_b128 s[4:7], s[0:1], 0x18
	s_load_b128 s[8:11], s[0:1], 0x0
	v_mul_lo_u16 v1, 0x44, v1
	s_delay_alu instid0(VALU_DEP_1) | instskip(NEXT) | instid1(VALU_DEP_1)
	v_sub_nc_u16 v22, v0, v1
	v_and_b32_e32 v119, 0xffff, v22
	s_delay_alu instid0(VALU_DEP_1)
	v_lshlrev_b32_e32 v122, 3, v119
	s_wait_kmcnt 0x0
	s_load_b128 s[16:19], s[4:5], 0x0
	s_clause 0xa
	global_load_b64 v[87:88], v122, s[8:9]
	global_load_b64 v[91:92], v122, s[8:9] offset:544
	global_load_b64 v[81:82], v122, s[8:9] offset:1088
	;; [unrolled: 1-line block ×10, first 2 shown]
	s_wait_kmcnt 0x0
	v_mad_co_u64_u32 v[0:1], null, s18, v80, 0
	v_mad_co_u64_u32 v[2:3], null, s16, v119, 0
	s_mul_u64 s[2:3], s[16:17], 0x220
	s_delay_alu instid0(VALU_DEP_1) | instskip(NEXT) | instid1(VALU_DEP_1)
	v_mad_co_u64_u32 v[4:5], null, s19, v80, v[1:2]
	v_mad_co_u64_u32 v[5:6], null, s17, v119, v[3:4]
	v_mov_b32_e32 v1, v4
	s_delay_alu instid0(VALU_DEP_1) | instskip(NEXT) | instid1(VALU_DEP_3)
	v_lshlrev_b64_e32 v[0:1], 3, v[0:1]
	v_mov_b32_e32 v3, v5
	s_delay_alu instid0(VALU_DEP_2) | instskip(NEXT) | instid1(VALU_DEP_2)
	v_add_co_u32 v0, vcc_lo, s14, v0
	v_lshlrev_b64_e32 v[2:3], 3, v[2:3]
	s_delay_alu instid0(VALU_DEP_4) | instskip(NEXT) | instid1(VALU_DEP_2)
	v_add_co_ci_u32_e32 v1, vcc_lo, s15, v1, vcc_lo
	v_add_co_u32 v0, vcc_lo, v0, v2
	s_wait_alu 0xfffd
	s_delay_alu instid0(VALU_DEP_2) | instskip(NEXT) | instid1(VALU_DEP_2)
	v_add_co_ci_u32_e32 v1, vcc_lo, v1, v3, vcc_lo
	v_add_co_u32 v2, vcc_lo, v0, s2
	s_wait_alu 0xfffd
	s_delay_alu instid0(VALU_DEP_2)
	v_add_co_ci_u32_e32 v3, vcc_lo, s3, v1, vcc_lo
	global_load_b64 v[0:1], v[0:1], off
	v_add_co_u32 v4, vcc_lo, v2, s2
	s_wait_alu 0xfffd
	v_add_co_ci_u32_e32 v5, vcc_lo, s3, v3, vcc_lo
	global_load_b64 v[2:3], v[2:3], off
	v_add_co_u32 v6, vcc_lo, v4, s2
	s_wait_alu 0xfffd
	v_add_co_ci_u32_e32 v7, vcc_lo, s3, v5, vcc_lo
	s_delay_alu instid0(VALU_DEP_2) | instskip(SKIP_1) | instid1(VALU_DEP_2)
	v_add_co_u32 v8, vcc_lo, v6, s2
	s_wait_alu 0xfffd
	v_add_co_ci_u32_e32 v9, vcc_lo, s3, v7, vcc_lo
	s_delay_alu instid0(VALU_DEP_2) | instskip(SKIP_1) | instid1(VALU_DEP_2)
	v_add_co_u32 v10, vcc_lo, v8, s2
	s_wait_alu 0xfffd
	v_add_co_ci_u32_e32 v11, vcc_lo, s3, v9, vcc_lo
	s_clause 0x2
	global_load_b64 v[4:5], v[4:5], off
	global_load_b64 v[6:7], v[6:7], off
	;; [unrolled: 1-line block ×3, first 2 shown]
	v_add_co_u32 v12, vcc_lo, v10, s2
	s_wait_alu 0xfffd
	v_add_co_ci_u32_e32 v13, vcc_lo, s3, v11, vcc_lo
	global_load_b64 v[10:11], v[10:11], off
	v_add_co_u32 v14, vcc_lo, v12, s2
	s_wait_alu 0xfffd
	v_add_co_ci_u32_e32 v15, vcc_lo, s3, v13, vcc_lo
	global_load_b64 v[12:13], v[12:13], off
	;; [unrolled: 4-line block ×6, first 2 shown]
	v_add_co_u32 v25, vcc_lo, v23, s2
	s_wait_alu 0xfffd
	v_add_co_ci_u32_e32 v26, vcc_lo, s3, v24, vcc_lo
	global_load_b64 v[103:104], v122, s[8:9] offset:5984
	global_load_b64 v[27:28], v[23:24], off
	global_load_b64 v[105:106], v122, s[8:9] offset:6528
	global_load_b64 v[25:26], v[25:26], off
	v_mul_hi_u32 v23, 0xaaaaaaab, v80
	s_load_b128 s[4:7], s[6:7], 0x0
	s_load_b64 s[2:3], s[0:1], 0x38
	v_cmp_gt_u16_e32 vcc_lo, 17, v22
	s_delay_alu instid0(VALU_DEP_2) | instskip(NEXT) | instid1(VALU_DEP_1)
	v_lshrrev_b32_e32 v23, 1, v23
	v_lshl_add_u32 v23, v23, 1, v23
	s_delay_alu instid0(VALU_DEP_1) | instskip(NEXT) | instid1(VALU_DEP_1)
	v_sub_nc_u32_e32 v23, v80, v23
	v_mul_u32_u24_e32 v23, 0x374, v23
	s_delay_alu instid0(VALU_DEP_1) | instskip(SKIP_3) | instid1(VALU_DEP_2)
	v_lshlrev_b32_e32 v121, 3, v23
	s_wait_loadcnt 0xe
	v_mul_f32_e32 v29, v1, v88
	v_mul_f32_e32 v30, v0, v88
	v_fmac_f32_e32 v29, v0, v87
	s_delay_alu instid0(VALU_DEP_2)
	v_fma_f32 v30, v1, v87, -v30
	s_wait_loadcnt 0xc
	v_dual_mul_f32 v1, v2, v92 :: v_dual_mul_f32 v0, v5, v82
	v_dual_mul_f32 v33, v4, v82 :: v_dual_add_nc_u32 v120, v122, v121
	s_wait_loadcnt 0xb
	v_mul_f32_e32 v34, v6, v96
	s_delay_alu instid0(VALU_DEP_3) | instskip(SKIP_2) | instid1(VALU_DEP_1)
	v_fmac_f32_e32 v0, v4, v81
	s_wait_loadcnt 0xa
	v_mul_f32_e32 v4, v9, v84
	v_dual_mul_f32 v31, v3, v92 :: v_dual_fmac_f32 v4, v8, v83
	s_delay_alu instid0(VALU_DEP_1) | instskip(SKIP_1) | instid1(VALU_DEP_1)
	v_dual_fmac_f32 v31, v2, v91 :: v_dual_add_nc_u32 v24, 0x1000, v120
	v_mul_f32_e32 v2, v7, v96
	v_dual_fmac_f32 v2, v6, v95 :: v_dual_add_nc_u32 v23, 0x800, v120
	s_wait_loadcnt 0x9
	v_mul_f32_e32 v6, v11, v86
	v_fma_f32 v32, v3, v91, -v1
	v_fma_f32 v1, v5, v81, -v33
	v_fma_f32 v3, v7, v95, -v34
	s_delay_alu instid0(VALU_DEP_4)
	v_dual_mul_f32 v5, v8, v84 :: v_dual_fmac_f32 v6, v10, v85
	ds_store_2addr_b64 v120, v[29:30], v[31:32] offset1:68
	s_wait_loadcnt 0x6
	v_mul_f32_e32 v8, v17, v98
	ds_store_2addr_b64 v120, v[0:1], v[2:3] offset0:136 offset1:204
	v_mul_f32_e32 v1, v10, v86
	v_fma_f32 v5, v9, v83, -v5
	v_mul_f32_e32 v0, v13, v90
	v_mul_f32_e32 v2, v15, v94
	;; [unrolled: 1-line block ×3, first 2 shown]
	v_fma_f32 v7, v11, v85, -v1
	s_wait_loadcnt 0x5
	v_mul_f32_e32 v11, v18, v100
	v_dual_mul_f32 v9, v14, v94 :: v_dual_fmac_f32 v0, v12, v89
	v_fmac_f32_e32 v2, v14, v93
	v_fma_f32 v1, v13, v89, -v3
	v_mul_f32_e32 v10, v19, v100
	s_delay_alu instid0(VALU_DEP_4)
	v_fma_f32 v3, v15, v93, -v9
	v_mul_f32_e32 v9, v16, v98
	s_wait_loadcnt 0x4
	v_mul_f32_e32 v12, v21, v102
	v_dual_mul_f32 v13, v20, v102 :: v_dual_fmac_f32 v10, v18, v99
	s_wait_loadcnt 0x2
	v_mul_f32_e32 v14, v28, v104
	v_dual_mul_f32 v15, v27, v104 :: v_dual_fmac_f32 v8, v16, v97
	v_fma_f32 v9, v17, v97, -v9
	s_wait_loadcnt 0x0
	v_mul_f32_e32 v17, v25, v106
	v_mul_f32_e32 v16, v26, v106
	v_fma_f32 v11, v19, v99, -v11
	v_fmac_f32_e32 v12, v20, v101
	v_fma_f32 v13, v21, v101, -v13
	v_fmac_f32_e32 v14, v27, v103
	;; [unrolled: 2-line block ×3, first 2 shown]
	v_fma_f32 v17, v26, v105, -v17
	ds_store_2addr_b64 v23, v[4:5], v[6:7] offset0:16 offset1:84
	ds_store_2addr_b64 v23, v[0:1], v[2:3] offset0:152 offset1:220
	;; [unrolled: 1-line block ×4, first 2 shown]
	ds_store_b64 v120, v[16:17] offset:6528
	global_wb scope:SCOPE_SE
	s_wait_dscnt 0x0
	s_wait_kmcnt 0x0
	s_barrier_signal -1
	s_barrier_wait -1
	global_inv scope:SCOPE_SE
	ds_load_2addr_b64 v[8:11], v120 offset1:68
	ds_load_b64 v[20:21], v120 offset:6528
	ds_load_2addr_b64 v[16:19], v120 offset0:136 offset1:204
	ds_load_2addr_b64 v[0:3], v24 offset0:168 offset1:236
	;; [unrolled: 1-line block ×5, first 2 shown]
	scratch_store_b32 off, v121, off        ; 4-byte Folded Spill
	global_wb scope:SCOPE_SE
	s_wait_storecnt_dscnt 0x0
	s_barrier_signal -1
	s_barrier_wait -1
	global_inv scope:SCOPE_SE
	v_add_f32_e32 v29, v8, v10
	v_dual_add_f32 v31, v20, v10 :: v_dual_add_f32 v30, v9, v11
	v_dual_sub_f32 v35, v16, v2 :: v_dual_add_f32 v32, v21, v11
	v_dual_add_f32 v37, v0, v18 :: v_dual_sub_f32 v10, v10, v20
	v_sub_f32_e32 v43, v12, v6
	v_sub_f32_e32 v11, v11, v21
	v_dual_sub_f32 v39, v18, v0 :: v_dual_sub_f32 v40, v19, v1
	v_dual_add_f32 v33, v2, v16 :: v_dual_add_f32 v34, v3, v17
	v_dual_add_f32 v41, v6, v12 :: v_dual_sub_f32 v36, v17, v3
	v_dual_add_f32 v45, v4, v14 :: v_dual_add_f32 v38, v1, v19
	v_dual_sub_f32 v47, v14, v4 :: v_dual_sub_f32 v44, v13, v7
	v_add_f32_e32 v17, v30, v17
	v_dual_sub_f32 v48, v15, v5 :: v_dual_mul_f32 v55, 0xbf7e222b, v11
	v_dual_add_f32 v16, v29, v16 :: v_dual_mul_f32 v29, 0xbeedf032, v11
	s_delay_alu instid0(VALU_DEP_3)
	v_dual_mul_f32 v30, 0xbeedf032, v10 :: v_dual_add_f32 v17, v17, v19
	v_dual_mul_f32 v74, 0x3eedf032, v40 :: v_dual_mul_f32 v79, 0x3eedf032, v39
	v_dual_add_f32 v42, v7, v13 :: v_dual_mul_f32 v53, 0xbf52af12, v11
	v_dual_add_f32 v46, v5, v15 :: v_dual_mul_f32 v61, 0xbf52af12, v36
	;; [unrolled: 1-line block ×3, first 2 shown]
	v_dual_sub_f32 v52, v26, v28 :: v_dual_mul_f32 v59, 0xbf29c268, v11
	v_dual_mul_f32 v54, 0xbf52af12, v10 :: v_dual_mul_f32 v75, 0xbf52af12, v40
	v_dual_mul_f32 v56, 0xbf7e222b, v10 :: v_dual_mul_f32 v71, 0xbf7e222b, v40
	;; [unrolled: 1-line block ×4, first 2 shown]
	v_mul_f32_e32 v77, 0xbe750f2a, v39
	v_dual_mul_f32 v73, 0x3f6f5d39, v40 :: v_dual_mul_f32 v78, 0x3f6f5d39, v39
	v_dual_mul_f32 v40, 0xbf29c268, v40 :: v_dual_mul_f32 v127, 0xbf29c268, v47
	;; [unrolled: 1-line block ×6, first 2 shown]
	v_dual_mul_f32 v129, 0xbf52af12, v47 :: v_dual_add_f32 v16, v16, v18
	v_mul_f32_e32 v47, 0xbf6f5d39, v47
	v_dual_fmamk_f32 v19, v32, 0x3f62ad3f, v30 :: v_dual_fmamk_f32 v162, v38, 0x3f62ad3f, v79
	v_mul_f32_e32 v118, 0xbf29c268, v48
	v_mul_f32_e32 v48, 0xbf6f5d39, v48
	v_dual_mul_f32 v76, 0xbf7e222b, v39 :: v_dual_mul_f32 v111, 0xbf7e222b, v44
	v_dual_mul_f32 v108, 0xbf6f5d39, v44 :: v_dual_mul_f32 v113, 0xbf6f5d39, v43
	;; [unrolled: 1-line block ×5, first 2 shown]
	v_mul_f32_e32 v44, 0x3f52af12, v44
	v_dual_fmamk_f32 v141, v32, 0xbeb58ec6, v58 :: v_dual_fmamk_f32 v184, v46, 0xbeb58ec6, v47
	v_mul_f32_e32 v116, 0xbf7e222b, v43
	v_mul_f32_e32 v43, 0x3f52af12, v43
	v_dual_mul_f32 v60, 0xbf29c268, v10 :: v_dual_mul_f32 v39, 0xbf29c268, v39
	v_dual_mul_f32 v10, 0xbe750f2a, v10 :: v_dual_mul_f32 v65, 0xbe750f2a, v36
	;; [unrolled: 1-line block ×4, first 2 shown]
	v_mul_f32_e32 v36, 0x3eedf032, v36
	v_fma_f32 v18, 0x3f62ad3f, v31, -v29
	v_fmac_f32_e32 v29, 0x3f62ad3f, v31
	v_mul_f32_e32 v62, 0xbf52af12, v35
	v_fma_f32 v136, 0x3f116cb1, v31, -v53
	v_dual_fmamk_f32 v137, v32, 0x3f116cb1, v54 :: v_dual_fmamk_f32 v174, v42, 0x3f116cb1, v43
	v_mul_f32_e32 v64, 0xbf6f5d39, v35
	v_fmac_f32_e32 v53, 0x3f116cb1, v31
	v_fma_f32 v169, 0x3f116cb1, v41, -v44
	v_fmac_f32_e32 v44, 0x3f116cb1, v41
	v_mul_f32_e32 v66, 0xbe750f2a, v35
	v_mul_f32_e32 v35, 0x3eedf032, v35
	v_add_f32_e32 v53, v8, v53
	v_sub_f32_e32 v51, v25, v27
	v_fma_f32 v30, 0x3f62ad3f, v32, -v30
	v_fma_f32 v54, 0x3f116cb1, v32, -v54
	;; [unrolled: 1-line block ×3, first 2 shown]
	v_fmamk_f32 v139, v32, 0x3df6dbef, v56
	v_fma_f32 v56, 0x3df6dbef, v32, -v56
	v_add_f32_e32 v30, v9, v30
	v_fma_f32 v140, 0xbeb58ec6, v31, -v57
	v_fmac_f32_e32 v57, 0xbeb58ec6, v31
	v_fma_f32 v58, 0xbeb58ec6, v32, -v58
	v_fma_f32 v142, 0xbf3f9e67, v31, -v59
	v_dual_fmamk_f32 v143, v32, 0xbf3f9e67, v60 :: v_dual_fmamk_f32 v164, v38, 0xbf3f9e67, v39
	v_fmac_f32_e32 v59, 0xbf3f9e67, v31
	v_fma_f32 v60, 0xbf3f9e67, v32, -v60
	v_fma_f32 v144, 0xbf788fa5, v31, -v11
	v_fmac_f32_e32 v11, 0xbf788fa5, v31
	v_fma_f32 v146, 0xbeb58ec6, v33, -v63
	v_dual_fmac_f32 v63, 0xbeb58ec6, v33 :: v_dual_add_f32 v138, v8, v138
	v_fma_f32 v148, 0xbf788fa5, v33, -v65
	v_dual_fmamk_f32 v149, v34, 0xbf788fa5, v66 :: v_dual_add_f32 v56, v9, v56
	v_dual_fmac_f32 v65, 0xbf788fa5, v33 :: v_dual_fmamk_f32 v182, v46, 0xbf788fa5, v130
	v_fma_f32 v66, 0xbf788fa5, v34, -v66
	v_fma_f32 v150, 0xbf3f9e67, v33, -v67
	v_dual_fmamk_f32 v151, v34, 0xbf3f9e67, v68 :: v_dual_add_f32 v140, v8, v140
	v_dual_fmac_f32 v67, 0xbf3f9e67, v33 :: v_dual_fmamk_f32 v170, v42, 0xbf3f9e67, v114
	v_fma_f32 v68, 0xbf3f9e67, v34, -v68
	;; [unrolled: 4-line block ×3, first 2 shown]
	v_fma_f32 v154, 0x3f62ad3f, v33, -v36
	v_fmac_f32_e32 v36, 0x3f62ad3f, v33
	v_fma_f32 v155, 0xbf788fa5, v37, -v72
	v_fmac_f32_e32 v72, 0xbf788fa5, v37
	v_fma_f32 v156, 0xbeb58ec6, v37, -v73
	v_dual_fmac_f32 v73, 0xbeb58ec6, v37 :: v_dual_add_f32 v60, v9, v60
	v_fma_f32 v157, 0x3f62ad3f, v37, -v74
	v_fmac_f32_e32 v74, 0x3f62ad3f, v37
	v_fma_f32 v158, 0x3f116cb1, v37, -v75
	v_dual_fmac_f32 v75, 0x3f116cb1, v37 :: v_dual_add_f32 v144, v8, v144
	v_fma_f32 v159, 0xbf3f9e67, v37, -v40
	v_fmac_f32_e32 v40, 0xbf3f9e67, v37
	v_add_f32_e32 v29, v8, v29
	v_dual_fmamk_f32 v145, v34, 0x3f116cb1, v62 :: v_dual_add_f32 v18, v8, v18
	v_fma_f32 v62, 0x3f116cb1, v34, -v62
	v_add_f32_e32 v137, v9, v137
	v_dual_fmamk_f32 v147, v34, 0xbeb58ec6, v64 :: v_dual_add_f32 v54, v9, v54
	v_fma_f32 v64, 0xbeb58ec6, v34, -v64
	v_add_f32_e32 v141, v9, v141
	v_dual_fmac_f32 v55, 0x3df6dbef, v31 :: v_dual_fmamk_f32 v172, v42, 0x3df6dbef, v116
	v_dual_fmamk_f32 v31, v32, 0xbf788fa5, v10 :: v_dual_fmamk_f32 v160, v38, 0xbf788fa5, v77
	v_fma_f32 v10, 0xbf788fa5, v32, -v10
	v_fma_f32 v32, 0x3f116cb1, v33, -v61
	v_dual_fmac_f32 v61, 0x3f116cb1, v33 :: v_dual_add_f32 v136, v8, v136
	v_fmamk_f32 v33, v34, 0x3f62ad3f, v35
	v_fma_f32 v34, 0x3f62ad3f, v34, -v35
	v_fma_f32 v35, 0x3df6dbef, v37, -v71
	v_dual_fmac_f32 v71, 0x3df6dbef, v37 :: v_dual_add_f32 v142, v8, v142
	v_dual_fmamk_f32 v37, v38, 0x3df6dbef, v76 :: v_dual_add_f32 v12, v16, v12
	v_dual_mul_f32 v134, 0x3eedf032, v52 :: v_dual_mul_f32 v135, 0x3eedf032, v51
	v_fma_f32 v76, 0x3df6dbef, v38, -v76
	v_fma_f32 v77, 0xbf788fa5, v38, -v77
	v_dual_fmamk_f32 v161, v38, 0xbeb58ec6, v78 :: v_dual_add_f32 v16, v9, v31
	v_fma_f32 v78, 0xbeb58ec6, v38, -v78
	v_fma_f32 v79, 0x3f62ad3f, v38, -v79
	v_fmamk_f32 v163, v38, 0x3f116cb1, v107
	v_fma_f32 v107, 0x3f116cb1, v38, -v107
	v_fma_f32 v38, 0xbf3f9e67, v38, -v39
	;; [unrolled: 1-line block ×3, first 2 shown]
	v_fmac_f32_e32 v108, 0xbeb58ec6, v41
	v_fma_f32 v165, 0xbf3f9e67, v41, -v109
	v_fmac_f32_e32 v109, 0xbf3f9e67, v41
	v_fma_f32 v167, 0x3df6dbef, v41, -v111
	v_fmac_f32_e32 v111, 0x3df6dbef, v41
	v_add_f32_e32 v19, v9, v19
	v_add_f32_e32 v139, v9, v139
	;; [unrolled: 1-line block ×5, first 2 shown]
	v_dual_add_f32 v59, v8, v59 :: v_dual_add_f32 v60, v70, v60
	v_dual_add_f32 v13, v17, v13 :: v_dual_add_f32 v8, v8, v11
	v_add_f32_e32 v9, v9, v10
	v_add_f32_e32 v10, v12, v14
	v_fma_f32 v175, 0x3df6dbef, v45, -v123
	v_dual_fmac_f32 v123, 0x3df6dbef, v45 :: v_dual_add_f32 v12, v32, v18
	v_fma_f32 v177, 0xbf788fa5, v45, -v125
	v_fmac_f32_e32 v125, 0xbf788fa5, v45
	v_dual_fmamk_f32 v181, v46, 0x3f116cb1, v129 :: v_dual_add_f32 v14, v61, v29
	v_dual_fmamk_f32 v187, v50, 0x3f62ad3f, v135 :: v_dual_add_f32 v18, v147, v137
	v_dual_add_f32 v11, v13, v15 :: v_dual_add_f32 v10, v10, v25
	v_dual_add_f32 v13, v145, v19 :: v_dual_add_f32 v12, v35, v12
	;; [unrolled: 1-line block ×3, first 2 shown]
	s_delay_alu instid0(VALU_DEP_4)
	v_dual_add_f32 v19, v63, v53 :: v_dual_add_f32 v18, v160, v18
	v_dual_add_f32 v30, v148, v138 :: v_dual_add_f32 v53, v66, v56
	v_add_f32_e32 v56, v67, v57
	v_dual_add_f32 v32, v65, v55 :: v_dual_add_f32 v29, v64, v54
	v_dual_add_f32 v54, v150, v140 :: v_dual_add_f32 v31, v149, v139
	v_add_f32_e32 v57, v68, v58
	v_dual_add_f32 v58, v152, v142 :: v_dual_add_f32 v59, v69, v59
	v_add_f32_e32 v16, v164, v16
	v_dual_add_f32 v8, v36, v8 :: v_dual_add_f32 v49, v27, v25
	v_fma_f32 v166, 0x3f62ad3f, v41, -v110
	v_dual_fmac_f32 v110, 0x3f62ad3f, v41 :: v_dual_fmamk_f32 v171, v42, 0x3f62ad3f, v115
	v_fma_f32 v168, 0xbf788fa5, v41, -v112
	v_dual_fmac_f32 v112, 0xbf788fa5, v41 :: v_dual_fmamk_f32 v173, v42, 0xbf788fa5, v117
	v_fmamk_f32 v41, v42, 0xbeb58ec6, v113
	v_dual_add_f32 v17, v146, v136 :: v_dual_add_f32 v14, v71, v14
	v_add_f32_e32 v55, v151, v141
	v_dual_add_f32 v61, v153, v143 :: v_dual_add_f32 v36, v158, v58
	v_add_f32_e32 v62, v154, v144
	v_dual_add_f32 v9, v34, v9 :: v_dual_add_f32 v8, v40, v8
	v_dual_add_f32 v11, v11, v26 :: v_dual_add_f32 v10, v10, v27
	;; [unrolled: 1-line block ×3, first 2 shown]
	v_add_f32_e32 v26, v156, v30
	v_add_f32_e32 v30, v73, v32
	;; [unrolled: 1-line block ×4, first 2 shown]
	v_dual_add_f32 v29, v161, v31 :: v_dual_add_f32 v34, v74, v56
	v_add_f32_e32 v31, v78, v53
	v_dual_add_f32 v53, v75, v59 :: v_dual_add_f32 v8, v44, v8
	v_fma_f32 v113, 0xbeb58ec6, v42, -v113
	v_fma_f32 v114, 0xbf3f9e67, v42, -v114
	;; [unrolled: 1-line block ×7, first 2 shown]
	v_fmac_f32_e32 v118, 0xbf3f9e67, v45
	v_fma_f32 v176, 0x3f116cb1, v45, -v124
	v_fmac_f32_e32 v124, 0x3f116cb1, v45
	v_fma_f32 v178, 0x3f62ad3f, v45, -v126
	v_dual_fmac_f32 v126, 0x3f62ad3f, v45 :: v_dual_fmamk_f32 v183, v46, 0x3f62ad3f, v131
	v_fma_f32 v179, 0xbeb58ec6, v45, -v48
	v_fmac_f32_e32 v48, 0xbeb58ec6, v45
	v_fmamk_f32 v45, v46, 0xbf3f9e67, v127
	v_dual_add_f32 v17, v155, v17 :: v_dual_add_f32 v14, v108, v14
	v_add_f32_e32 v33, v162, v55
	v_dual_add_f32 v37, v163, v61 :: v_dual_add_f32 v16, v174, v16
	v_add_f32_e32 v54, v107, v60
	v_add_f32_e32 v55, v159, v62
	;; [unrolled: 1-line block ×3, first 2 shown]
	v_dual_add_f32 v13, v41, v13 :: v_dual_add_f32 v4, v10, v4
	v_add_f32_e32 v28, v110, v30
	v_add_f32_e32 v30, v167, v32
	;; [unrolled: 1-line block ×6, first 2 shown]
	v_dual_add_f32 v15, v76, v15 :: v_dual_add_f32 v18, v170, v18
	v_dual_add_f32 v19, v72, v19 :: v_dual_add_f32 v26, v166, v26
	v_dual_add_f32 v9, v38, v9 :: v_dual_add_f32 v10, v43, v12
	v_add_f32_e32 v27, v171, v29
	v_add_f32_e32 v29, v115, v31
	v_dual_add_f32 v31, v172, v33 :: v_dual_add_f32 v38, v169, v55
	v_add_f32_e32 v33, v116, v35
	v_dual_add_f32 v35, v173, v37 :: v_dual_add_f32 v4, v4, v6
	v_dual_mul_f32 v132, 0xbe750f2a, v52 :: v_dual_mul_f32 v133, 0xbe750f2a, v51
	v_fma_f32 v127, 0xbf3f9e67, v46, -v127
	v_fma_f32 v128, 0x3df6dbef, v46, -v128
	v_add_f32_e32 v17, v165, v17
	v_add_f32_e32 v15, v113, v15
	;; [unrolled: 1-line block ×4, first 2 shown]
	v_dual_add_f32 v9, v42, v9 :: v_dual_add_f32 v0, v4, v0
	v_dual_add_f32 v12, v118, v14 :: v_dual_add_f32 v5, v11, v5
	v_fma_f32 v129, 0x3f116cb1, v46, -v129
	v_fma_f32 v130, 0xbf788fa5, v46, -v130
	s_delay_alu instid0(VALU_DEP_4)
	v_add_f32_e32 v6, v0, v2
	v_fma_f32 v131, 0x3f62ad3f, v46, -v131
	v_fma_f32 v46, 0xbeb58ec6, v46, -v47
	;; [unrolled: 1-line block ×3, first 2 shown]
	v_dual_fmamk_f32 v185, v50, 0xbf788fa5, v133 :: v_dual_fmac_f32 v132, 0xbf788fa5, v49
	v_fma_f32 v186, 0x3f62ad3f, v49, -v134
	s_delay_alu instid0(VALU_DEP_3) | instskip(SKIP_1) | instid1(VALU_DEP_4)
	v_dual_add_f32 v11, v45, v13 :: v_dual_add_f32 v4, v47, v10
	v_add_f32_e32 v14, v175, v17
	v_dual_add_f32 v13, v127, v15 :: v_dual_add_f32 v0, v132, v12
	v_dual_add_f32 v15, v180, v18 :: v_dual_add_f32 v6, v6, v20
	;; [unrolled: 1-line block ×3, first 2 shown]
	s_delay_alu instid0(VALU_DEP_4)
	v_add_f32_e32 v2, v186, v14
	v_dual_add_f32 v19, v176, v26 :: v_dual_mul_f32 v12, 0xbf29c268, v52
	v_add_f32_e32 v26, v124, v28
	v_add_f32_e32 v28, v177, v30
	;; [unrolled: 1-line block ×4, first 2 shown]
	v_fma_f32 v133, 0xbf788fa5, v50, -v133
	v_add_f32_e32 v30, v125, v32
	v_dual_add_f32 v25, v181, v27 :: v_dual_fmac_f32 v134, 0x3f62ad3f, v49
	v_dual_add_f32 v1, v5, v1 :: v_dual_mul_f32 v20, 0xbf6f5d39, v52
	v_dual_add_f32 v32, v178, v34 :: v_dual_add_f32 v27, v129, v29
	v_add_f32_e32 v34, v126, v36
	v_dual_add_f32 v29, v182, v31 :: v_dual_add_f32 v36, v179, v38
	s_delay_alu instid0(VALU_DEP_4) | instskip(SKIP_4) | instid1(VALU_DEP_4)
	v_dual_add_f32 v38, v48, v8 :: v_dual_add_f32 v3, v1, v3
	v_fma_f32 v10, 0xbf3f9e67, v49, -v12
	v_fmac_f32_e32 v12, 0xbf3f9e67, v49
	v_add_f32_e32 v31, v130, v33
	v_dual_add_f32 v33, v183, v35 :: v_dual_add_f32 v8, v134, v17
	v_dual_add_f32 v35, v131, v37 :: v_dual_add_f32 v10, v10, v19
	v_add_f32_e32 v37, v184, v16
	v_dual_mul_f32 v16, 0x3f52af12, v52 :: v_dual_add_f32 v1, v133, v13
	v_add_f32_e32 v7, v3, v21
	v_dual_add_f32 v3, v187, v15 :: v_dual_add_f32 v12, v12, v26
	s_delay_alu instid0(VALU_DEP_3) | instskip(SKIP_4) | instid1(VALU_DEP_4)
	v_fma_f32 v15, 0x3f116cb1, v49, -v16
	v_fmac_f32_e32 v16, 0x3f116cb1, v49
	v_add_f32_e32 v39, v46, v9
	v_fma_f32 v9, 0x3f62ad3f, v50, -v135
	v_mul_f32_e32 v26, 0x3f7e222b, v51
	v_dual_mul_f32 v19, 0xbf6f5d39, v51 :: v_dual_add_f32 v16, v16, v30
	v_mul_f32_e32 v17, 0x3f52af12, v51
                                        ; implicit-def: $vgpr46
	s_delay_alu instid0(VALU_DEP_3)
	v_fma_f32 v30, 0x3df6dbef, v50, -v26
	v_add_f32_e32 v9, v9, v18
	v_fma_f32 v18, 0xbeb58ec6, v49, -v20
	v_add_f32_e32 v5, v185, v11
	v_mul_f32_e32 v11, 0xbf29c268, v51
	v_dual_fmamk_f32 v21, v50, 0xbeb58ec6, v19 :: v_dual_fmac_f32 v20, 0xbeb58ec6, v49
	s_delay_alu instid0(VALU_DEP_4) | instskip(NEXT) | instid1(VALU_DEP_3)
	v_add_f32_e32 v18, v18, v32
	v_fmamk_f32 v13, v50, 0xbf3f9e67, v11
	v_fma_f32 v14, 0xbf3f9e67, v50, -v11
	s_delay_alu instid0(VALU_DEP_2) | instskip(SKIP_1) | instid1(VALU_DEP_3)
	v_dual_add_f32 v20, v20, v34 :: v_dual_add_f32 v11, v13, v25
	v_fma_f32 v25, 0xbeb58ec6, v50, -v19
	v_dual_add_f32 v13, v14, v27 :: v_dual_add_f32 v14, v15, v28
	v_fmamk_f32 v15, v50, 0x3f116cb1, v17
	v_fma_f32 v17, 0x3f116cb1, v50, -v17
	v_add_f32_e32 v19, v21, v33
	v_add_f32_e32 v21, v25, v35
	v_mul_lo_u16 v25, v22, 13
	v_mul_f32_e32 v27, 0x3f7e222b, v52
	v_add_f32_e32 v17, v17, v31
	v_add_f32_e32 v15, v15, v29
	v_fmamk_f32 v29, v50, 0x3df6dbef, v26
	v_and_b32_e32 v31, 0xffff, v25
	v_fma_f32 v28, 0x3df6dbef, v49, -v27
	v_fmac_f32_e32 v27, 0x3df6dbef, v49
	s_delay_alu instid0(VALU_DEP_4) | instskip(NEXT) | instid1(VALU_DEP_4)
	v_add_f32_e32 v26, v29, v37
	v_lshl_add_u32 v125, v31, 3, v121
	s_delay_alu instid0(VALU_DEP_4) | instskip(NEXT) | instid1(VALU_DEP_4)
	v_add_f32_e32 v25, v28, v36
	v_dual_add_f32 v27, v27, v38 :: v_dual_add_f32 v28, v30, v39
	ds_store_2addr_b64 v125, v[6:7], v[4:5] offset1:1
	ds_store_2addr_b64 v125, v[2:3], v[10:11] offset0:2 offset1:3
	ds_store_2addr_b64 v125, v[14:15], v[18:19] offset0:4 offset1:5
	;; [unrolled: 1-line block ×5, first 2 shown]
	ds_store_b64 v125, v[0:1] offset:96
	v_add_nc_u32_e32 v8, 0x1400, v120
	global_wb scope:SCOPE_SE
	s_wait_dscnt 0x0
	s_barrier_signal -1
	s_barrier_wait -1
	global_inv scope:SCOPE_SE
	ds_load_2addr_b64 v[4:7], v120 offset1:68
	ds_load_2addr_b64 v[16:19], v120 offset0:136 offset1:221
	ds_load_2addr_b64 v[40:43], v23 offset0:186 offset1:254
	;; [unrolled: 1-line block ×5, first 2 shown]
                                        ; kill: def $vgpr2 killed $sgpr0 killed $exec
	s_and_saveexec_b32 s0, vcc_lo
	s_cbranch_execz .LBB0_3
; %bb.2:
	v_add_nc_u32_e32 v0, 0x600, v120
	ds_load_2addr_b64 v[0:3], v0 offset0:12 offset1:233
	ds_load_2addr_b64 v[44:47], v8 offset0:6 offset1:227
.LBB0_3:
	s_wait_alu 0xfffe
	s_or_b32 exec_lo, exec_lo, s0
	v_and_b32_e32 v8, 0xff, v119
	v_add_nc_u16 v10, v119, 0x44
	v_add_nc_u16 v11, v119, 0x88
	;; [unrolled: 1-line block ×3, first 2 shown]
	s_delay_alu instid0(VALU_DEP_4) | instskip(NEXT) | instid1(VALU_DEP_3)
	v_mul_lo_u16 v8, 0x4f, v8
	v_and_b32_e32 v9, 0xff, v11
	s_delay_alu instid0(VALU_DEP_3) | instskip(NEXT) | instid1(VALU_DEP_3)
	v_and_b32_e32 v14, 0xffff, v12
	v_lshrrev_b16 v50, 10, v8
	v_and_b32_e32 v8, 0xff, v10
	s_delay_alu instid0(VALU_DEP_4) | instskip(NEXT) | instid1(VALU_DEP_4)
	v_mul_lo_u16 v9, 0x4f, v9
	v_mul_u32_u24_e32 v14, 0x4ec5, v14
	s_delay_alu instid0(VALU_DEP_4) | instskip(NEXT) | instid1(VALU_DEP_4)
	v_mul_lo_u16 v13, v50, 13
	v_mul_lo_u16 v8, 0x4f, v8
	s_delay_alu instid0(VALU_DEP_4) | instskip(NEXT) | instid1(VALU_DEP_4)
	v_lshrrev_b16 v52, 10, v9
	v_lshrrev_b32_e32 v15, 18, v14
	s_delay_alu instid0(VALU_DEP_4) | instskip(NEXT) | instid1(VALU_DEP_4)
	v_sub_nc_u16 v13, v119, v13
	v_lshrrev_b16 v51, 10, v8
	s_delay_alu instid0(VALU_DEP_4)
	v_mul_lo_u16 v14, v52, 13
	scratch_store_b32 off, v15, off offset:4 ; 4-byte Folded Spill
	v_mul_lo_u16 v15, v15, 13
	v_and_b32_e32 v53, 0xff, v13
	v_mul_lo_u16 v13, v51, 13
	v_sub_nc_u16 v11, v11, v14
	s_delay_alu instid0(VALU_DEP_4) | instskip(NEXT) | instid1(VALU_DEP_4)
	v_sub_nc_u16 v12, v12, v15
	v_mad_co_u64_u32 v[8:9], null, v53, 24, s[10:11]
	s_delay_alu instid0(VALU_DEP_4)
	v_sub_nc_u16 v10, v10, v13
	s_clause 0x1
	global_load_b128 v[24:27], v[8:9], off
	global_load_b64 v[113:114], v[8:9], off offset:16
	v_and_b32_e32 v54, 0xff, v10
	v_and_b32_e32 v55, 0xff, v11
	scratch_store_b32 off, v12, off offset:8 ; 4-byte Folded Spill
	v_mul_lo_u16 v12, v12, 24
	v_mad_co_u64_u32 v[8:9], null, v54, 24, s[10:11]
	v_mad_co_u64_u32 v[10:11], null, v55, 24, s[10:11]
	s_delay_alu instid0(VALU_DEP_3)
	v_and_b32_e32 v48, 0xffff, v12
	s_clause 0x2
	global_load_b128 v[20:23], v[8:9], off
	global_load_b64 v[111:112], v[8:9], off offset:16
	global_load_b128 v[12:15], v[10:11], off
	v_add_co_u32 v48, s0, s10, v48
	s_wait_alu 0xf1ff
	v_add_co_ci_u32_e64 v49, null, s11, 0, s0
	s_clause 0x2
	global_load_b64 v[109:110], v[10:11], off offset:16
	global_load_b128 v[8:11], v[48:49], off
	global_load_b64 v[107:108], v[48:49], off offset:16
	v_and_b32_e32 v49, 0xffff, v51
	scratch_load_b32 v51, off, off          ; 4-byte Folded Reload
	v_and_b32_e32 v48, 0xffff, v50
	v_and_b32_e32 v50, 0xffff, v52
	global_wb scope:SCOPE_SE
	s_wait_storecnt 0x0
	s_wait_loadcnt_dscnt 0x0
	v_mul_u32_u24_e32 v49, 52, v49
	s_barrier_signal -1
	v_mul_u32_u24_e32 v48, 52, v48
	v_mul_u32_u24_e32 v50, 52, v50
	s_barrier_wait -1
	v_add_nc_u32_e32 v49, v49, v54
	global_inv scope:SCOPE_SE
	v_mul_f32_e32 v52, v31, v114
	v_dual_mul_f32 v54, v39, v13 :: v_dual_mul_f32 v57, v28, v15
	v_add_nc_u32_e32 v50, v50, v55
	v_dual_mul_f32 v56, v38, v13 :: v_dual_mul_f32 v55, v29, v15
	v_dual_mul_f32 v58, v35, v110 :: v_dual_mul_f32 v61, v2, v9
	s_delay_alu instid0(VALU_DEP_4)
	v_dual_fmac_f32 v57, v29, v14 :: v_dual_mul_f32 v60, v3, v9
	v_mul_f32_e32 v65, v46, v108
	v_lshl_add_u32 v115, v50, 3, v51
	v_mul_f32_e32 v50, v41, v27
	v_add_nc_u32_e32 v48, v48, v53
	v_lshl_add_u32 v116, v49, 3, v51
	v_mul_f32_e32 v49, v18, v25
	v_mul_f32_e32 v53, v30, v114
	v_fma_f32 v30, v30, v113, -v52
	v_lshl_add_u32 v72, v48, 3, v51
	v_dual_mul_f32 v48, v19, v25 :: v_dual_mul_f32 v51, v40, v27
	v_fmac_f32_e32 v49, v19, v24
	v_fma_f32 v19, v40, v26, -v50
	v_fmac_f32_e32 v53, v31, v113
	s_delay_alu instid0(VALU_DEP_4)
	v_fma_f32 v18, v18, v24, -v48
	v_fmac_f32_e32 v51, v41, v26
	v_mul_f32_e32 v41, v43, v23
	v_mul_f32_e32 v31, v37, v21
	;; [unrolled: 1-line block ×4, first 2 shown]
	v_dual_mul_f32 v50, v33, v112 :: v_dual_mul_f32 v59, v34, v110
	v_mul_f32_e32 v52, v32, v112
	v_mul_f32_e32 v62, v45, v11
	v_dual_mul_f32 v63, v44, v11 :: v_dual_mul_f32 v64, v47, v108
	v_sub_f32_e32 v19, v4, v19
	v_fma_f32 v31, v36, v20, -v31
	v_dual_fmac_f32 v40, v37, v20 :: v_dual_fmac_f32 v65, v47, v107
	v_fma_f32 v36, v42, v22, -v41
	v_fmac_f32_e32 v48, v43, v22
	v_fma_f32 v32, v32, v111, -v50
	v_dual_fmac_f32 v52, v33, v111 :: v_dual_fmac_f32 v61, v3, v8
	v_fma_f32 v33, v38, v12, -v54
	v_dual_fmac_f32 v56, v39, v12 :: v_dual_fmac_f32 v63, v45, v10
	v_fma_f32 v28, v28, v14, -v55
	v_fma_f32 v29, v34, v109, -v58
	v_dual_fmac_f32 v59, v35, v109 :: v_dual_sub_f32 v34, v5, v51
	v_dual_sub_f32 v30, v18, v30 :: v_dual_sub_f32 v39, v17, v57
	v_sub_f32_e32 v35, v49, v53
	v_fma_f32 v2, v2, v8, -v60
	v_fma_f32 v3, v44, v10, -v62
	;; [unrolled: 1-line block ×3, first 2 shown]
	v_fma_f32 v4, v4, 2.0, -v19
	v_fma_f32 v18, v18, 2.0, -v30
	;; [unrolled: 1-line block ×3, first 2 shown]
	v_sub_f32_e32 v50, v19, v35
	v_sub_f32_e32 v35, v7, v48
	v_add_f32_e32 v51, v34, v30
	v_fma_f32 v5, v5, 2.0, -v34
	v_dual_sub_f32 v30, v6, v36 :: v_dual_sub_f32 v29, v33, v29
	v_dual_sub_f32 v32, v31, v32 :: v_dual_sub_f32 v41, v56, v59
	;; [unrolled: 1-line block ×4, first 2 shown]
	s_delay_alu instid0(VALU_DEP_2) | instskip(NEXT) | instid1(VALU_DEP_4)
	v_dual_sub_f32 v3, v0, v3 :: v_dual_sub_f32 v62, v30, v36
	v_dual_sub_f32 v42, v1, v63 :: v_dual_add_f32 v63, v35, v32
	v_dual_sub_f32 v48, v4, v18 :: v_dual_add_f32 v67, v39, v29
	s_delay_alu instid0(VALU_DEP_4)
	v_dual_sub_f32 v49, v5, v38 :: v_dual_sub_f32 v66, v28, v41
	v_fma_f32 v54, v19, 2.0, -v50
	v_fma_f32 v6, v6, 2.0, -v30
	;; [unrolled: 1-line block ×14, first 2 shown]
	v_dual_sub_f32 v58, v3, v43 :: v_dual_add_f32 v59, v42, v37
	v_fma_f32 v52, v4, 2.0, -v48
	v_fma_f32 v53, v5, 2.0, -v49
	v_dual_sub_f32 v60, v6, v18 :: v_dual_sub_f32 v61, v7, v19
	v_dual_sub_f32 v64, v16, v31 :: v_dual_sub_f32 v65, v17, v32
	;; [unrolled: 1-line block ×3, first 2 shown]
	v_fma_f32 v70, v30, 2.0, -v62
	v_fma_f32 v71, v35, 2.0, -v63
	;; [unrolled: 1-line block ×4, first 2 shown]
	ds_store_2addr_b64 v72, v[48:49], v[50:51] offset0:26 offset1:39
	v_fma_f32 v74, v3, 2.0, -v58
	v_fma_f32 v75, v42, 2.0, -v59
	;; [unrolled: 1-line block ×6, first 2 shown]
	s_clause 0x1
	scratch_store_b32 off, v72, off offset:20
	scratch_store_b32 off, v116, off offset:16
	ds_store_2addr_b64 v72, v[52:53], v[54:55] offset1:13
	v_fma_f32 v72, v0, 2.0, -v56
	v_fma_f32 v73, v1, 2.0, -v57
	ds_store_2addr_b64 v116, v[60:61], v[62:63] offset0:26 offset1:39
	ds_store_2addr_b64 v116, v[68:69], v[70:71] offset1:13
	ds_store_2addr_b64 v115, v[76:77], v[78:79] offset1:13
	scratch_store_b32 off, v115, off offset:12 ; 4-byte Folded Spill
	ds_store_2addr_b64 v115, v[64:65], v[66:67] offset0:26 offset1:39
	s_and_saveexec_b32 s0, vcc_lo
	s_cbranch_execz .LBB0_5
; %bb.4:
	s_clause 0x1
	scratch_load_b32 v0, off, off offset:4
	scratch_load_b32 v1, off, off offset:8
	s_wait_loadcnt 0x0
	v_mad_u16 v0, v0, 52, v1
	scratch_load_b32 v1, off, off           ; 4-byte Folded Reload
	v_and_b32_e32 v0, 0xffff, v0
	s_wait_loadcnt 0x0
	s_delay_alu instid0(VALU_DEP_1)
	v_lshl_add_u32 v0, v0, 3, v1
	ds_store_2addr_b64 v0, v[72:73], v[74:75] offset1:13
	ds_store_2addr_b64 v0, v[56:57], v[58:59] offset0:26 offset1:39
.LBB0_5:
	s_wait_alu 0xfffe
	s_or_b32 exec_lo, exec_lo, s0
	v_add_co_u32 v117, s0, s8, v122
	s_wait_alu 0xf1ff
	v_add_co_ci_u32_e64 v118, null, s9, 0, s0
	v_cmp_gt_u16_e64 s0, 52, v119
	global_wb scope:SCOPE_SE
	s_wait_storecnt_dscnt 0x0
	s_barrier_signal -1
	s_barrier_wait -1
	global_inv scope:SCOPE_SE
                                        ; implicit-def: $vgpr115
	s_and_saveexec_b32 s1, s0
	s_cbranch_execz .LBB0_7
; %bb.6:
	v_add_nc_u32_e32 v0, 0x400, v120
	v_add_nc_u32_e32 v1, 0x800, v120
	;; [unrolled: 1-line block ×3, first 2 shown]
	ds_load_2addr_b64 v[52:55], v120 offset1:52
	ds_load_2addr_b64 v[48:51], v120 offset0:104 offset1:156
	ds_load_2addr_b64 v[68:71], v0 offset0:80 offset1:132
	v_add_nc_u32_e32 v0, 0x1400, v120
	ds_load_2addr_b64 v[60:63], v1 offset0:56 offset1:108
	ds_load_2addr_b64 v[76:79], v1 offset0:160 offset1:212
	;; [unrolled: 1-line block ×5, first 2 shown]
	ds_load_b64 v[115:116], v120 offset:6656
.LBB0_7:
	s_wait_alu 0xfffe
	s_or_b32 exec_lo, exec_lo, s1
	v_lshlrev_b32_e32 v0, 4, v119
	s_delay_alu instid0(VALU_DEP_1) | instskip(SKIP_2) | instid1(VALU_DEP_2)
	v_add_co_u32 v2, s1, 0xfffffcc0, v0
	s_wait_alu 0xf1ff
	v_add_co_ci_u32_e64 v1, null, 0, -1, s1
	v_cndmask_b32_e64 v0, v2, v0, s0
	s_delay_alu instid0(VALU_DEP_2) | instskip(NEXT) | instid1(VALU_DEP_1)
	v_cndmask_b32_e64 v1, v1, 0, s0
	v_lshlrev_b64_e32 v[0:1], 3, v[0:1]
	s_delay_alu instid0(VALU_DEP_1) | instskip(SKIP_1) | instid1(VALU_DEP_2)
	v_add_co_u32 v44, s1, s10, v0
	s_wait_alu 0xf1ff
	v_add_co_ci_u32_e64 v45, s1, s11, v1, s1
	s_clause 0x7
	global_load_b128 v[36:39], v[44:45], off offset:312
	global_load_b128 v[28:31], v[44:45], off offset:328
	;; [unrolled: 1-line block ×8, first 2 shown]
	s_wait_loadcnt_dscnt 0x707
	v_dual_mul_f32 v144, v55, v37 :: v_dual_mul_f32 v145, v49, v39
	v_dual_mul_f32 v192, v54, v37 :: v_dual_mul_f32 v133, v48, v39
	s_wait_loadcnt_dscnt 0x606
	v_dual_mul_f32 v134, v50, v29 :: v_dual_mul_f32 v135, v68, v31
	s_wait_loadcnt_dscnt 0x505
	;; [unrolled: 2-line block ×5, first 2 shown]
	v_dual_mul_f32 v158, v59, v45 :: v_dual_mul_f32 v159, v116, v47
	v_dual_mul_f32 v130, v58, v45 :: v_dual_mul_f32 v129, v115, v47
	;; [unrolled: 1-line block ×4, first 2 shown]
	v_fma_f32 v215, v54, v36, -v144
	v_dual_fmac_f32 v192, v55, v36 :: v_dual_fmac_f32 v135, v69, v30
	v_dual_fmac_f32 v134, v51, v28 :: v_dual_fmac_f32 v137, v61, v18
	;; [unrolled: 1-line block ×3, first 2 shown]
	v_fma_f32 v61, v56, v42, -v157
	v_fma_f32 v56, v115, v46, -v159
	v_dual_mul_f32 v146, v51, v29 :: v_dual_mul_f32 v147, v69, v31
	v_dual_mul_f32 v142, v64, v7 :: v_dual_fmac_f32 v133, v49, v38
	v_dual_mul_f32 v154, v67, v33 :: v_dual_mul_f32 v141, v72, v35
	v_mul_f32_e32 v143, v66, v33
	v_fma_f32 v144, v48, v38, -v145
	v_fma_f32 v69, v70, v16, -v148
	;; [unrolled: 1-line block ×4, first 2 shown]
	v_dual_fmac_f32 v130, v59, v44 :: v_dual_add_f32 v223, v192, v129
	v_dual_add_f32 v221, v215, v56 :: v_dual_sub_f32 v222, v192, v129
	s_delay_alu instid0(VALU_DEP_2)
	v_dual_sub_f32 v224, v215, v56 :: v_dual_add_f32 v55, v133, v130
	v_dual_mul_f32 v150, v63, v1 :: v_dual_mul_f32 v151, v77, v3
	v_dual_mul_f32 v138, v62, v1 :: v_dual_mul_f32 v139, v76, v3
	v_dual_mul_f32 v152, v79, v5 :: v_dual_mul_f32 v153, v65, v7
	v_fma_f32 v145, v50, v28, -v146
	v_dual_fmac_f32 v142, v65, v6 :: v_dual_fmac_f32 v143, v67, v32
	v_fma_f32 v65, v66, v32, -v154
	v_dual_fmac_f32 v132, v75, v40 :: v_dual_fmac_f32 v131, v57, v42
	v_sub_f32_e32 v163, v144, v60
	v_dual_mul_f32 v229, 0xbf65296c, v222 :: v_dual_mul_f32 v230, 0xbf65296c, v224
	v_fma_f32 v146, v68, v30, -v147
	v_dual_fmac_f32 v136, v71, v16 :: v_dual_fmac_f32 v139, v77, v2
	v_fma_f32 v71, v62, v0, -v150
	v_fma_f32 v76, v76, v2, -v151
	;; [unrolled: 1-line block ×4, first 2 shown]
	v_add_f32_e32 v58, v134, v131
	v_sub_f32_e32 v164, v145, v61
	v_dual_sub_f32 v186, v70, v65 :: v_dual_sub_f32 v197, v137, v143
	v_mul_f32_e32 v190, 0xbf4c4adb, v163
	v_fma_f32 v78, 0x3ee437d1, v223, -v230
	v_dual_fmac_f32 v138, v63, v0 :: v_dual_fmac_f32 v141, v73, v34
	v_fma_f32 v68, v64, v6, -v153
	v_dual_add_f32 v54, v144, v60 :: v_dual_sub_f32 v165, v133, v130
	v_dual_add_f32 v59, v146, v62 :: v_dual_add_f32 v64, v135, v132
	v_dual_sub_f32 v167, v146, v62 :: v_dual_sub_f32 v176, v135, v132
	v_dual_add_f32 v67, v136, v141 :: v_dual_add_f32 v148, v139, v140
	v_sub_f32_e32 v203, v76, v147
	v_dual_mul_f32 v227, 0xbf2c7751, v222 :: v_dual_mul_f32 v228, 0xbf2c7751, v224
	v_dual_mul_f32 v231, 0xbf7ee86f, v222 :: v_dual_mul_f32 v232, 0xbf7ee86f, v224
	v_dual_mul_f32 v193, 0x3e3c28d5, v164 :: v_dual_add_f32 v78, v53, v78
	v_mul_f32_e32 v153, 0xbf4c4adb, v197
	v_fma_f32 v238, 0xbf1a4643, v55, -v190
	v_dual_add_f32 v57, v145, v61 :: v_dual_sub_f32 v166, v134, v131
	v_dual_mul_f32 v226, 0xbeb8f4ab, v224 :: v_dual_mul_f32 v191, 0xbeb8f4ab, v197
	v_dual_mul_f32 v152, 0xbf7ee86f, v165 :: v_dual_mul_f32 v157, 0xbf7ee86f, v163
	;; [unrolled: 1-line block ×4, first 2 shown]
	v_dual_mul_f32 v183, 0x3eb8f4ab, v203 :: v_dual_add_f32 v78, v238, v78
	v_fma_f32 v51, 0x3f3d2fb0, v223, -v228
	v_fma_f32 v246, 0xbf7ba420, v58, -v193
	v_fmamk_f32 v115, v221, 0x3dbcf732, v231
	v_fma_f32 v63, v72, v34, -v155
	v_dual_add_f32 v74, v71, v68 :: v_dual_sub_f32 v205, v138, v142
	v_dual_mul_f32 v184, 0xbf4c4adb, v165 :: v_dual_mul_f32 v155, 0xbf4c4adb, v166
	v_dual_mul_f32 v206, 0x3f763a35, v166 :: v_dual_mul_f32 v211, 0x3f763a35, v164
	v_dual_mul_f32 v126, 0xbf7ee86f, v176 :: v_dual_add_f32 v51, v53, v51
	v_fma_f32 v49, 0x3f6eb680, v223, -v226
	v_mul_f32_e32 v160, 0xbf4c4adb, v164
	v_fma_f32 v236, 0x3dbcf732, v55, -v157
	v_fmamk_f32 v239, v54, 0xbf7ba420, v204
	v_fma_f32 v254, 0xbe8c1d8e, v64, -v195
	v_add_f32_e32 v78, v246, v78
	v_dual_mul_f32 v156, 0xbe3c28d5, v176 :: v_dual_add_f32 v115, v52, v115
	v_dual_sub_f32 v218, v139, v140 :: v_dual_mul_f32 v225, 0xbeb8f4ab, v222
	v_dual_mul_f32 v200, 0xbeb8f4ab, v186 :: v_dual_add_f32 v51, v236, v51
	s_delay_alu instid0(VALU_DEP_3)
	v_dual_mul_f32 v194, 0xbf7ee86f, v205 :: v_dual_add_f32 v115, v239, v115
	v_dual_fmamk_f32 v243, v57, 0xbf1a4643, v155 :: v_dual_add_f32 v78, v254, v78
	v_fmamk_f32 v247, v57, 0xbe8c1d8e, v206
	v_fmamk_f32 v50, v221, 0x3f3d2fb0, v227
	v_add_f32_e32 v49, v53, v49
	v_fma_f32 v244, 0xbf1a4643, v58, -v160
	v_dual_mul_f32 v208, 0xbe3c28d5, v163 :: v_dual_mul_f32 v173, 0xbe3c28d5, v218
	v_fmamk_f32 v48, v221, 0x3f6eb680, v225
	v_fma_f32 v116, 0x3dbcf732, v223, -v232
	s_delay_alu instid0(VALU_DEP_4)
	v_add_f32_e32 v51, v244, v51
	v_mul_f32_e32 v123, 0xbf2c7751, v165
	v_fmamk_f32 v251, v59, 0xbf7ba420, v156
	v_fmamk_f32 v235, v54, 0x3dbcf732, v152
	v_add_f32_e32 v115, v247, v115
	v_dual_mul_f32 v127, 0xbf2c7751, v163 :: v_dual_add_f32 v50, v52, v50
	v_dual_add_f32 v66, v69, v63 :: v_dual_sub_f32 v185, v136, v141
	v_dual_sub_f32 v178, v69, v63 :: v_dual_add_f32 v75, v138, v142
	v_dual_mul_f32 v124, 0xbf65296c, v166 :: v_dual_mul_f32 v149, 0xbf65296c, v164
	v_dual_mul_f32 v187, 0x3e3c28d5, v166 :: v_dual_add_f32 v116, v53, v116
	v_dual_mul_f32 v207, 0x3eb8f4ab, v176 :: v_dual_add_f32 v50, v235, v50
	v_fma_f32 v240, 0xbf7ba420, v55, -v208
	v_dual_fmamk_f32 v249, v59, 0x3dbcf732, v126 :: v_dual_add_f32 v48, v52, v48
	v_fmamk_f32 v233, v54, 0x3f3d2fb0, v123
	v_mul_f32_e32 v213, 0x3eb8f4ab, v167
	v_dual_mul_f32 v128, 0xbf763a35, v185 :: v_dual_mul_f32 v151, 0xbf763a35, v178
	v_dual_mul_f32 v199, 0x3f2c7751, v178 :: v_dual_add_f32 v116, v240, v116
	v_dual_mul_f32 v209, 0xbf65296c, v185 :: v_dual_mul_f32 v214, 0xbf65296c, v178
	v_dual_fmamk_f32 v77, v221, 0x3ee437d1, v229 :: v_dual_add_f32 v50, v243, v50
	v_mul_f32_e32 v150, 0xbf7ee86f, v167
	v_fma_f32 v234, 0x3f3d2fb0, v55, -v127
	v_fmamk_f32 v241, v57, 0x3ee437d1, v124
	v_fma_f32 v248, 0xbe8c1d8e, v58, -v211
	v_add_f32_e32 v48, v233, v48
	v_dual_sub_f32 v196, v71, v68 :: v_dual_add_f32 v79, v76, v147
	v_dual_mul_f32 v154, 0xbf4c4adb, v186 :: v_dual_add_f32 v49, v234, v49
	s_delay_alu instid0(VALU_DEP_4)
	v_dual_mul_f32 v219, 0x3f2c7751, v218 :: v_dual_add_f32 v116, v248, v116
	s_clause 0x1
	scratch_store_b32 off, v127, off offset:56
	scratch_store_b32 off, v128, off offset:60
	v_fmamk_f32 v237, v54, 0xbf1a4643, v184
	s_clause 0x3
	scratch_store_b32 off, v151, off offset:72
	scratch_store_b32 off, v154, off offset:76
	scratch_store_b32 off, v152, off offset:80
	scratch_store_b32 off, v155, off offset:84
	v_fmamk_f32 v152, v66, 0x3ee437d1, v209
	v_dual_mul_f32 v175, 0x3eb8f4ab, v218 :: v_dual_add_f32 v48, v241, v48
	v_add_f32_e32 v77, v52, v77
	s_clause 0x1
	scratch_store_b32 off, v149, off offset:64
	scratch_store_b32 off, v150, off offset:68
	v_dual_mul_f32 v216, 0xbf06c442, v186 :: v_dual_mul_f32 v121, 0xbf06c442, v205
	v_dual_mul_f32 v162, 0xbf06c442, v196 :: v_dual_add_f32 v77, v237, v77
	v_add_f32_e32 v48, v249, v48
	v_dual_fmamk_f32 v245, v57, 0xbf7ba420, v187 :: v_dual_add_f32 v72, v70, v65
	v_add_f32_e32 v73, v137, v143
	v_dual_mul_f32 v159, 0x3f763a35, v197 :: v_dual_mul_f32 v170, 0x3f763a35, v186
	s_delay_alu instid0(VALU_DEP_3)
	v_dual_mul_f32 v174, 0xbe3c28d5, v203 :: v_dual_add_f32 v77, v245, v77
	s_clause 0x1
	scratch_store_b32 off, v124, off offset:48
	scratch_store_b32 off, v126, off offset:52
	v_dual_fmamk_f32 v126, v66, 0xbe8c1d8e, v128 :: v_dual_fmamk_f32 v155, v72, 0xbe8c1d8e, v159
	s_clause 0x4
	scratch_store_b32 off, v121, off offset:28
	scratch_store_b32 off, v174, off offset:32
	;; [unrolled: 1-line block ×5, first 2 shown]
	v_fma_f32 v123, 0x3f6eb680, v64, -v213
	v_dual_mul_f32 v158, 0x3f06c442, v185 :: v_dual_mul_f32 v169, 0x3f06c442, v178
	v_fma_f32 v124, 0x3ee437d1, v67, -v214
	s_delay_alu instid0(VALU_DEP_3)
	v_dual_fmamk_f32 v153, v72, 0xbf1a4643, v153 :: v_dual_add_f32 v116, v123, v116
	v_add_f32_e32 v48, v126, v48
	v_dual_mul_f32 v210, 0xbf06c442, v197 :: v_dual_mul_f32 v201, 0xbf06c442, v218
	v_dual_mul_f32 v168, 0x3f65296c, v205 :: v_dual_mul_f32 v171, 0x3f65296c, v196
	;; [unrolled: 1-line block ×3, first 2 shown]
	s_clause 0x4
	scratch_store_b32 off, v157, off offset:92
	scratch_store_b32 off, v158, off offset:96
	;; [unrolled: 1-line block ×5, first 2 shown]
	v_dual_fmamk_f32 v128, v66, 0xbf59a7d5, v158 :: v_dual_fmamk_f32 v179, v79, 0xbf59a7d5, v201
	v_fma_f32 v160, 0xbf59a7d5, v73, -v216
	v_dual_add_f32 v116, v124, v116 :: v_dual_fmamk_f32 v255, v59, 0x3f6eb680, v207
	v_add_f32_e32 v48, v153, v48
	v_dual_add_f32 v50, v251, v50 :: v_dual_mul_f32 v189, 0x3f2c7751, v185
	v_mul_f32_e32 v220, 0x3f2c7751, v203
	v_fma_f32 v242, 0x3ee437d1, v58, -v149
	v_fma_f32 v252, 0xbf7ba420, v64, -v161
	;; [unrolled: 1-line block ×5, first 2 shown]
	v_add_f32_e32 v50, v128, v50
	v_dual_add_f32 v116, v160, v116 :: v_dual_add_f32 v115, v255, v115
	v_dual_mul_f32 v198, 0xbf7ee86f, v196 :: v_dual_add_f32 v49, v242, v49
	v_fma_f32 v250, 0x3dbcf732, v64, -v150
	s_clause 0x1
	scratch_store_b32 off, v161, off offset:112
	scratch_store_b32 off, v169, off offset:116
	v_fma_f32 v149, 0xbf59a7d5, v67, -v169
	v_dual_fmamk_f32 v150, v66, 0x3f3d2fb0, v189 :: v_dual_add_f32 v51, v252, v51
	v_fma_f32 v158, 0x3f6eb680, v73, -v200
	v_fmamk_f32 v161, v74, 0xbf59a7d5, v121
	v_dual_fmamk_f32 v121, v74, 0x3ee437d1, v168 :: v_dual_add_f32 v126, v172, v116
	v_add_f32_e32 v78, v151, v78
	v_fmamk_f32 v253, v59, 0xbe8c1d8e, v188
	v_dual_add_f32 v115, v152, v115 :: v_dual_add_f32 v50, v155, v50
	v_fmamk_f32 v159, v72, 0xbf59a7d5, v210
	v_dual_mul_f32 v202, 0xbf06c442, v203 :: v_dual_add_f32 v49, v250, v49
	s_clause 0x2
	scratch_store_b32 off, v156, off offset:88
	scratch_store_b32 off, v170, off offset:120
	;; [unrolled: 1-line block ×3, first 2 shown]
	v_fma_f32 v156, 0xbe8c1d8e, v73, -v170
	scratch_store_b32 off, v171, off offset:128 ; 4-byte Folded Spill
	v_fma_f32 v168, 0x3ee437d1, v75, -v171
	v_fmamk_f32 v171, v74, 0xbf1a4643, v212
	v_dual_add_f32 v51, v149, v51 :: v_dual_add_f32 v78, v158, v78
	v_add_f32_e32 v77, v253, v77
	v_dual_add_f32 v50, v121, v50 :: v_dual_add_f32 v115, v159, v115
	v_fma_f32 v154, 0xbf1a4643, v73, -v154
	v_add_f32_e32 v49, v127, v49
	s_delay_alu instid0(VALU_DEP_4)
	v_add_f32_e32 v77, v150, v77
	v_add_f32_e32 v51, v156, v51
	v_dual_add_f32 v124, v171, v115 :: v_dual_fmamk_f32 v157, v72, 0x3f6eb680, v191
	v_add_f32_e32 v48, v161, v48
	v_fma_f32 v162, 0xbf59a7d5, v75, -v162
	v_fma_f32 v170, 0x3dbcf732, v75, -v198
	;; [unrolled: 1-line block ×3, first 2 shown]
	v_add_f32_e32 v49, v154, v49
	v_add_f32_e32 v77, v157, v77
	;; [unrolled: 1-line block ×3, first 2 shown]
	v_fmamk_f32 v169, v74, 0x3dbcf732, v194
	scratch_store_b32 off, v173, off offset:24 ; 4-byte Folded Spill
	v_fma_f32 v174, 0xbf7ba420, v148, -v174
	v_fma_f32 v180, 0xbf59a7d5, v148, -v202
	v_dual_add_f32 v116, v177, v51 :: v_dual_fmamk_f32 v181, v79, 0x3f3d2fb0, v219
	v_fmamk_f32 v175, v79, 0x3f6eb680, v175
	v_fma_f32 v182, 0x3f3d2fb0, v148, -v220
	v_add_f32_e32 v49, v162, v49
	v_fmamk_f32 v173, v79, 0xbf7ba420, v173
	v_add_f32_e32 v121, v169, v77
	v_add_f32_e32 v123, v170, v78
	s_delay_alu instid0(VALU_DEP_3) | instskip(SKIP_1) | instid1(VALU_DEP_3)
	v_dual_add_f32 v78, v174, v49 :: v_dual_add_f32 v77, v173, v48
	v_dual_add_f32 v48, v181, v124 :: v_dual_add_f32 v115, v175, v50
	;; [unrolled: 1-line block ×3, first 2 shown]
	v_add_f32_e32 v49, v182, v126
	s_and_saveexec_b32 s1, s0
	s_cbranch_execz .LBB0_9
; %bb.8:
	v_mul_f32_e32 v159, 0xbe3c28d5, v222
	v_mul_f32_e32 v151, 0xbf7ba420, v223
	v_dual_mul_f32 v157, 0xbf4c4adb, v224 :: v_dual_mul_f32 v168, 0xbf4c4adb, v222
	s_delay_alu instid0(VALU_DEP_3) | instskip(SKIP_2) | instid1(VALU_DEP_4)
	v_dual_add_f32 v173, v52, v215 :: v_dual_fmamk_f32 v160, v221, 0xbf7ba420, v159
	v_mul_f32_e32 v161, 0xbf06c442, v222
	v_mul_f32_e32 v235, 0x3f6eb680, v67
	v_fma_f32 v171, 0xbf1a4643, v221, -v168
	s_delay_alu instid0(VALU_DEP_4) | instskip(NEXT) | instid1(VALU_DEP_4)
	v_dual_mul_f32 v237, 0xbf7ba420, v73 :: v_dual_add_f32 v160, v52, v160
	v_fmamk_f32 v169, v221, 0xbf59a7d5, v161
	v_mul_f32_e32 v162, 0xbf763a35, v222
	v_fma_f32 v161, 0xbf59a7d5, v221, -v161
	v_dual_add_f32 v171, v52, v171 :: v_dual_add_f32 v172, v53, v192
	s_delay_alu instid0(VALU_DEP_4) | instskip(NEXT) | instid1(VALU_DEP_4)
	v_add_f32_e32 v169, v52, v169
	v_dual_mul_f32 v155, 0xbe8c1d8e, v223 :: v_dual_fmamk_f32 v170, v221, 0xbe8c1d8e, v162
	v_fma_f32 v162, 0xbe8c1d8e, v221, -v162
	v_mul_f32_e32 v238, 0xbeb8f4ab, v185
	v_mul_f32_e32 v239, 0x3f3d2fb0, v75
	s_delay_alu instid0(VALU_DEP_4) | instskip(SKIP_3) | instid1(VALU_DEP_4)
	v_fmamk_f32 v156, v224, 0x3f763a35, v155
	v_mul_f32_e32 v153, 0xbf59a7d5, v223
	v_dual_fmac_f32 v155, 0xbf763a35, v224 :: v_dual_add_f32 v162, v52, v162
	v_dual_mul_f32 v241, 0x3f2c7751, v205 :: v_dual_mul_f32 v246, 0x3f2c7751, v176
	v_add_f32_e32 v156, v53, v156
	s_delay_alu instid0(VALU_DEP_3) | instskip(SKIP_1) | instid1(VALU_DEP_2)
	v_dual_fmamk_f32 v154, v224, 0x3f06c442, v153 :: v_dual_add_f32 v155, v53, v155
	v_dual_fmac_f32 v153, 0xbf06c442, v224 :: v_dual_add_f32 v170, v52, v170
	v_dual_mul_f32 v245, 0xbf1a4643, v67 :: v_dual_add_f32 v154, v53, v154
	s_delay_alu instid0(VALU_DEP_2)
	v_dual_fmamk_f32 v152, v224, 0x3e3c28d5, v151 :: v_dual_add_f32 v153, v53, v153
	v_fmac_f32_e32 v151, 0xbe3c28d5, v224
	v_mul_f32_e32 v128, 0x3f3d2fb0, v221
	v_mul_f32_e32 v247, 0x3ee437d1, v73
	;; [unrolled: 1-line block ×3, first 2 shown]
	v_add_f32_e32 v152, v53, v152
	v_add_f32_e32 v151, v53, v151
	v_dual_mul_f32 v123, 0x3dbcf732, v221 :: v_dual_sub_f32 v128, v128, v227
	s_delay_alu instid0(VALU_DEP_4) | instskip(SKIP_1) | instid1(VALU_DEP_3)
	v_dual_sub_f32 v126, v126, v229 :: v_dual_mul_f32 v127, 0x3f3d2fb0, v223
	v_fma_f32 v159, 0xbf7ba420, v221, -v159
	v_dual_sub_f32 v123, v123, v231 :: v_dual_fmac_f32 v168, 0xbf1a4643, v221
	s_delay_alu instid0(VALU_DEP_3) | instskip(SKIP_1) | instid1(VALU_DEP_4)
	v_dual_mul_f32 v150, 0x3f6eb680, v221 :: v_dual_add_f32 v127, v228, v127
	v_mul_f32_e32 v149, 0x3f6eb680, v223
	v_add_f32_e32 v159, v52, v159
	s_delay_alu instid0(VALU_DEP_4) | instskip(NEXT) | instid1(VALU_DEP_4)
	v_dual_add_f32 v174, v52, v168 :: v_dual_mul_f32 v175, 0x3f06c442, v165
	v_sub_f32_e32 v150, v150, v225
	s_delay_alu instid0(VALU_DEP_4) | instskip(SKIP_3) | instid1(VALU_DEP_4)
	v_dual_mul_f32 v124, 0x3ee437d1, v223 :: v_dual_add_f32 v149, v226, v149
	v_mul_f32_e32 v233, 0x3dbcf732, v223
	v_mul_f32_e32 v168, 0xbf59a7d5, v55
	v_fmamk_f32 v158, v223, 0xbf1a4643, v157
	v_add_f32_e32 v124, v230, v124
	v_fma_f32 v157, 0xbf1a4643, v223, -v157
	v_add_f32_e32 v121, v232, v233
	v_add_f32_e32 v161, v52, v161
	;; [unrolled: 1-line block ×3, first 2 shown]
	v_dual_add_f32 v126, v52, v126 :: v_dual_add_f32 v127, v53, v127
	v_dual_add_f32 v128, v52, v128 :: v_dual_add_f32 v149, v53, v149
	;; [unrolled: 1-line block ×3, first 2 shown]
	v_fmamk_f32 v52, v163, 0xbf06c442, v168
	v_add_f32_e32 v158, v53, v158
	v_add_f32_e32 v121, v53, v121
	v_dual_add_f32 v124, v53, v124 :: v_dual_mul_f32 v229, 0xbeb8f4ab, v205
	s_delay_alu instid0(VALU_DEP_4)
	v_add_f32_e32 v52, v52, v156
	v_mul_f32_e32 v156, 0x3f3d2fb0, v58
	v_mul_f32_e32 v231, 0xbf4c4adb, v218
	;; [unrolled: 1-line block ×5, first 2 shown]
	v_fmamk_f32 v53, v164, 0xbf2c7751, v156
	v_mul_f32_e32 v240, 0xbe3c28d5, v197
	v_mul_f32_e32 v225, 0xbf59a7d5, v58
	;; [unrolled: 1-line block ×4, first 2 shown]
	v_dual_add_f32 v52, v53, v52 :: v_dual_fmamk_f32 v53, v54, 0xbf59a7d5, v175
	v_fmac_f32_e32 v168, 0x3f06c442, v163
	v_mul_f32_e32 v228, 0x3dbcf732, v58
	v_mul_f32_e32 v230, 0xbf1a4643, v148
	s_delay_alu instid0(VALU_DEP_4)
	v_dual_mul_f32 v248, 0xbf4c4adb, v185 :: v_dual_add_f32 v53, v53, v170
	v_mul_f32_e32 v170, 0x3ee437d1, v64
	v_mul_f32_e32 v226, 0x3eb8f4ab, v165
	;; [unrolled: 1-line block ×5, first 2 shown]
	v_fmamk_f32 v177, v167, 0x3f65296c, v170
	v_mul_f32_e32 v251, 0xbf763a35, v205
	v_mul_f32_e32 v205, 0xbe3c28d5, v205
	v_fmac_f32_e32 v156, 0x3f2c7751, v164
	s_delay_alu instid0(VALU_DEP_4) | instskip(NEXT) | instid1(VALU_DEP_1)
	v_dual_add_f32 v52, v177, v52 :: v_dual_mul_f32 v177, 0x3f2c7751, v166
	v_fmamk_f32 v179, v57, 0x3f3d2fb0, v177
	s_delay_alu instid0(VALU_DEP_1) | instskip(SKIP_2) | instid1(VALU_DEP_2)
	v_add_f32_e32 v53, v179, v53
	v_mul_f32_e32 v179, 0xbf7ba420, v67
	v_fmac_f32_e32 v170, 0xbf65296c, v167
	v_fmamk_f32 v180, v178, 0x3e3c28d5, v179
	s_delay_alu instid0(VALU_DEP_1) | instskip(SKIP_1) | instid1(VALU_DEP_1)
	v_add_f32_e32 v52, v180, v52
	v_mul_f32_e32 v180, 0xbf65296c, v176
	v_fmamk_f32 v181, v59, 0x3ee437d1, v180
	s_delay_alu instid0(VALU_DEP_1) | instskip(SKIP_1) | instid1(VALU_DEP_1)
	v_add_f32_e32 v53, v181, v53
	v_mul_f32_e32 v181, 0x3dbcf732, v73
	;; [unrolled: 4-line block ×3, first 2 shown]
	v_fmamk_f32 v192, v66, 0xbf7ba420, v182
	v_fmac_f32_e32 v179, 0xbe3c28d5, v178
	s_delay_alu instid0(VALU_DEP_2) | instskip(NEXT) | instid1(VALU_DEP_1)
	v_dual_add_f32 v53, v192, v53 :: v_dual_mul_f32 v192, 0x3f6eb680, v75
	v_fmamk_f32 v215, v196, 0x3eb8f4ab, v192
	s_delay_alu instid0(VALU_DEP_1) | instskip(SKIP_2) | instid1(VALU_DEP_3)
	v_dual_add_f32 v52, v215, v52 :: v_dual_mul_f32 v215, 0x3f7ee86f, v197
	v_fmac_f32_e32 v181, 0x3f7ee86f, v186
	v_mul_f32_e32 v197, 0xbf2c7751, v197
	v_fmamk_f32 v221, v72, 0x3dbcf732, v215
	s_delay_alu instid0(VALU_DEP_1) | instskip(SKIP_1) | instid1(VALU_DEP_1)
	v_add_f32_e32 v53, v221, v53
	v_fmamk_f32 v221, v74, 0x3f6eb680, v229
	v_dual_fmac_f32 v192, 0xbeb8f4ab, v196 :: v_dual_add_f32 v221, v221, v53
	v_fmamk_f32 v53, v203, 0x3f4c4adb, v230
	s_delay_alu instid0(VALU_DEP_1) | instskip(SKIP_1) | instid1(VALU_DEP_1)
	v_dual_fmac_f32 v230, 0xbf4c4adb, v203 :: v_dual_add_f32 v53, v53, v52
	v_fmamk_f32 v52, v79, 0xbf1a4643, v231
	v_dual_add_f32 v52, v52, v221 :: v_dual_fmamk_f32 v221, v163, 0xbf65296c, v227
	s_delay_alu instid0(VALU_DEP_1) | instskip(SKIP_1) | instid1(VALU_DEP_2)
	v_dual_add_f32 v154, v221, v154 :: v_dual_fmamk_f32 v221, v164, 0x3f7ee86f, v228
	v_fmac_f32_e32 v228, 0xbf7ee86f, v164
	v_dual_add_f32 v154, v221, v154 :: v_dual_fmamk_f32 v221, v54, 0x3ee437d1, v232
	s_delay_alu instid0(VALU_DEP_1) | instskip(SKIP_2) | instid1(VALU_DEP_2)
	v_add_f32_e32 v169, v221, v169
	v_fmamk_f32 v221, v167, 0xbf4c4adb, v233
	v_mul_f32_e32 v234, 0xbf7ee86f, v166
	v_add_f32_e32 v154, v221, v154
	s_delay_alu instid0(VALU_DEP_2) | instskip(NEXT) | instid1(VALU_DEP_1)
	v_fmamk_f32 v221, v57, 0x3dbcf732, v234
	v_add_f32_e32 v169, v221, v169
	v_fmamk_f32 v221, v178, 0x3eb8f4ab, v235
	v_mul_f32_e32 v236, 0x3f4c4adb, v176
	v_mul_f32_e32 v176, 0xbf06c442, v176
	s_delay_alu instid0(VALU_DEP_2) | instskip(NEXT) | instid1(VALU_DEP_1)
	v_dual_add_f32 v154, v221, v154 :: v_dual_fmamk_f32 v221, v59, 0xbf1a4643, v236
	v_add_f32_e32 v169, v221, v169
	v_fmamk_f32 v221, v186, 0x3e3c28d5, v237
	s_delay_alu instid0(VALU_DEP_1) | instskip(SKIP_1) | instid1(VALU_DEP_2)
	v_dual_add_f32 v154, v221, v154 :: v_dual_fmamk_f32 v221, v66, 0x3f6eb680, v238
	v_fmac_f32_e32 v227, 0x3f65296c, v163
	v_add_f32_e32 v169, v221, v169
	v_fmamk_f32 v221, v196, 0xbf2c7751, v239
	s_delay_alu instid0(VALU_DEP_1) | instskip(SKIP_1) | instid1(VALU_DEP_2)
	v_dual_add_f32 v154, v221, v154 :: v_dual_fmamk_f32 v221, v72, 0xbf7ba420, v240
	v_fmac_f32_e32 v233, 0x3f4c4adb, v167
	v_add_f32_e32 v169, v221, v169
	v_fmamk_f32 v221, v74, 0x3f3d2fb0, v241
	s_delay_alu instid0(VALU_DEP_1) | instskip(SKIP_2) | instid1(VALU_DEP_2)
	v_add_f32_e32 v169, v221, v169
	v_fmamk_f32 v221, v203, 0x3f763a35, v242
	v_fmac_f32_e32 v242, 0xbf763a35, v203
	v_dual_mul_f32 v243, 0x3f3d2fb0, v64 :: v_dual_add_f32 v222, v221, v154
	v_mul_f32_e32 v154, 0xbf763a35, v218
	v_fmac_f32_e32 v235, 0xbeb8f4ab, v178
	s_delay_alu instid0(VALU_DEP_2) | instskip(NEXT) | instid1(VALU_DEP_1)
	v_fmamk_f32 v221, v79, 0xbe8c1d8e, v154
	v_add_f32_e32 v221, v221, v169
	v_mul_f32_e32 v169, 0x3f6eb680, v55
	s_delay_alu instid0(VALU_DEP_1) | instskip(NEXT) | instid1(VALU_DEP_1)
	v_fmamk_f32 v223, v163, 0xbeb8f4ab, v169
	v_dual_add_f32 v152, v223, v152 :: v_dual_fmamk_f32 v223, v164, 0x3f06c442, v225
	v_fmac_f32_e32 v225, 0xbf06c442, v164
	s_delay_alu instid0(VALU_DEP_2) | instskip(NEXT) | instid1(VALU_DEP_1)
	v_dual_add_f32 v152, v223, v152 :: v_dual_fmamk_f32 v223, v54, 0x3f6eb680, v226
	v_add_f32_e32 v160, v223, v160
	v_fmamk_f32 v223, v167, 0xbf2c7751, v243
	s_delay_alu instid0(VALU_DEP_1) | instskip(SKIP_1) | instid1(VALU_DEP_1)
	v_dual_fmac_f32 v243, 0x3f2c7751, v167 :: v_dual_add_f32 v152, v223, v152
	v_fmamk_f32 v223, v57, 0xbf59a7d5, v244
	v_dual_add_f32 v160, v223, v160 :: v_dual_fmamk_f32 v223, v178, 0x3f4c4adb, v245
	v_fmac_f32_e32 v245, 0xbf4c4adb, v178
	s_delay_alu instid0(VALU_DEP_2) | instskip(SKIP_1) | instid1(VALU_DEP_1)
	v_dual_fmac_f32 v237, 0xbe3c28d5, v186 :: v_dual_add_f32 v152, v223, v152
	v_fmamk_f32 v223, v59, 0x3f3d2fb0, v246
	v_dual_add_f32 v160, v223, v160 :: v_dual_fmamk_f32 v223, v186, 0xbf65296c, v247
	s_delay_alu instid0(VALU_DEP_1) | instskip(SKIP_2) | instid1(VALU_DEP_2)
	v_dual_fmac_f32 v247, 0x3f65296c, v186 :: v_dual_add_f32 v152, v223, v152
	v_fmamk_f32 v223, v66, 0xbf1a4643, v248
	v_fmac_f32_e32 v239, 0x3f2c7751, v196
	v_dual_add_f32 v160, v223, v160 :: v_dual_fmamk_f32 v223, v72, 0x3ee437d1, v249
	s_delay_alu instid0(VALU_DEP_1) | instskip(SKIP_1) | instid1(VALU_DEP_2)
	v_dual_add_f32 v160, v223, v160 :: v_dual_fmamk_f32 v223, v196, 0x3f763a35, v250
	v_fmac_f32_e32 v250, 0xbf763a35, v196
	v_dual_add_f32 v152, v223, v152 :: v_dual_fmamk_f32 v223, v74, 0xbe8c1d8e, v251
	s_delay_alu instid0(VALU_DEP_1) | instskip(SKIP_1) | instid1(VALU_DEP_1)
	v_add_f32_e32 v160, v223, v160
	v_fmamk_f32 v223, v203, 0xbf7ee86f, v252
	v_dual_add_f32 v224, v223, v152 :: v_dual_fmac_f32 v169, 0x3eb8f4ab, v163
	s_delay_alu instid0(VALU_DEP_1) | instskip(SKIP_2) | instid1(VALU_DEP_3)
	v_dual_add_f32 v151, v169, v151 :: v_dual_mul_f32 v152, 0x3f7ee86f, v218
	v_mul_f32_e32 v218, 0x3f65296c, v218
	v_mul_f32_e32 v169, 0xbe3c28d5, v196
	v_add_f32_e32 v151, v225, v151
	s_delay_alu instid0(VALU_DEP_4) | instskip(SKIP_2) | instid1(VALU_DEP_4)
	v_fmamk_f32 v223, v79, 0x3dbcf732, v152
	v_fmac_f32_e32 v252, 0x3f7ee86f, v203
	v_fma_f32 v152, 0x3dbcf732, v79, -v152
	v_add_f32_e32 v151, v243, v151
	s_delay_alu instid0(VALU_DEP_4) | instskip(SKIP_1) | instid1(VALU_DEP_3)
	v_add_f32_e32 v223, v223, v160
	v_fma_f32 v160, 0x3f6eb680, v54, -v226
	v_add_f32_e32 v151, v245, v151
	s_delay_alu instid0(VALU_DEP_1) | instskip(NEXT) | instid1(VALU_DEP_1)
	v_add_f32_e32 v151, v247, v151
	v_add_f32_e32 v151, v250, v151
	s_delay_alu instid0(VALU_DEP_1) | instskip(SKIP_1) | instid1(VALU_DEP_2)
	v_dual_add_f32 v226, v252, v151 :: v_dual_add_f32 v151, v227, v153
	v_fma_f32 v153, 0x3dbcf732, v57, -v234
	v_add_f32_e32 v151, v228, v151
	s_delay_alu instid0(VALU_DEP_1) | instskip(SKIP_1) | instid1(VALU_DEP_2)
	v_add_f32_e32 v151, v233, v151
	v_mul_f32_e32 v233, 0x3f65296c, v203
	v_add_f32_e32 v151, v235, v151
	s_delay_alu instid0(VALU_DEP_1) | instskip(NEXT) | instid1(VALU_DEP_1)
	v_add_f32_e32 v151, v237, v151
	v_add_f32_e32 v151, v239, v151
	s_delay_alu instid0(VALU_DEP_1) | instskip(SKIP_3) | instid1(VALU_DEP_1)
	v_add_f32_e32 v228, v242, v151
	v_mul_f32_e32 v151, 0x3f763a35, v163
	v_add_f32_e32 v159, v160, v159
	v_fma_f32 v160, 0xbf59a7d5, v57, -v244
	v_add_f32_e32 v159, v160, v159
	v_fma_f32 v160, 0x3f3d2fb0, v59, -v246
	s_delay_alu instid0(VALU_DEP_1) | instskip(SKIP_1) | instid1(VALU_DEP_1)
	v_add_f32_e32 v159, v160, v159
	v_fma_f32 v160, 0xbf1a4643, v66, -v248
	v_add_f32_e32 v159, v160, v159
	v_fma_f32 v160, 0x3ee437d1, v72, -v249
	s_delay_alu instid0(VALU_DEP_1) | instskip(SKIP_1) | instid1(VALU_DEP_1)
	v_add_f32_e32 v159, v160, v159
	v_fma_f32 v160, 0xbe8c1d8e, v74, -v251
	v_add_f32_e32 v159, v160, v159
	s_delay_alu instid0(VALU_DEP_1) | instskip(SKIP_2) | instid1(VALU_DEP_2)
	v_add_f32_e32 v225, v152, v159
	v_fma_f32 v152, 0x3ee437d1, v54, -v232
	v_mul_f32_e32 v232, 0x3f7ee86f, v185
	v_add_f32_e32 v152, v152, v161
	s_delay_alu instid0(VALU_DEP_1) | instskip(SKIP_1) | instid1(VALU_DEP_1)
	v_add_f32_e32 v152, v153, v152
	v_fma_f32 v153, 0xbf1a4643, v59, -v236
	v_add_f32_e32 v152, v153, v152
	v_fma_f32 v153, 0x3f6eb680, v66, -v238
	s_delay_alu instid0(VALU_DEP_1) | instskip(SKIP_1) | instid1(VALU_DEP_1)
	v_add_f32_e32 v152, v153, v152
	v_fma_f32 v153, 0xbf7ba420, v72, -v240
	v_add_f32_e32 v152, v153, v152
	v_fma_f32 v153, 0x3f3d2fb0, v74, -v241
	s_delay_alu instid0(VALU_DEP_1) | instskip(SKIP_1) | instid1(VALU_DEP_1)
	v_add_f32_e32 v152, v153, v152
	v_fma_f32 v153, 0xbe8c1d8e, v79, -v154
	v_dual_add_f32 v227, v153, v152 :: v_dual_fmamk_f32 v152, v55, 0xbe8c1d8e, v151
	s_delay_alu instid0(VALU_DEP_1) | instskip(NEXT) | instid1(VALU_DEP_1)
	v_dual_mul_f32 v153, 0xbeb8f4ab, v164 :: v_dual_add_f32 v152, v152, v158
	v_fmamk_f32 v154, v58, 0x3f6eb680, v153
	s_delay_alu instid0(VALU_DEP_1) | instskip(SKIP_1) | instid1(VALU_DEP_1)
	v_add_f32_e32 v152, v154, v152
	v_mul_f32_e32 v154, 0xbf06c442, v167
	v_fmamk_f32 v158, v64, 0xbf59a7d5, v154
	s_delay_alu instid0(VALU_DEP_1) | instskip(SKIP_1) | instid1(VALU_DEP_1)
	v_add_f32_e32 v152, v158, v152
	v_mul_f32_e32 v158, 0x3f7ee86f, v178
	v_fmamk_f32 v159, v67, 0x3dbcf732, v158
	s_delay_alu instid0(VALU_DEP_1) | instskip(NEXT) | instid1(VALU_DEP_1)
	v_dual_add_f32 v152, v159, v152 :: v_dual_mul_f32 v159, 0xbf2c7751, v186
	v_fmamk_f32 v160, v73, 0x3f3d2fb0, v159
	s_delay_alu instid0(VALU_DEP_1) | instskip(SKIP_2) | instid1(VALU_DEP_2)
	v_add_f32_e32 v152, v160, v152
	v_mul_f32_e32 v160, 0x3f763a35, v165
	v_fmamk_f32 v165, v75, 0xbf7ba420, v169
	v_fma_f32 v161, 0xbe8c1d8e, v54, -v160
	s_delay_alu instid0(VALU_DEP_2) | instskip(NEXT) | instid1(VALU_DEP_2)
	v_add_f32_e32 v152, v165, v152
	v_dual_fmac_f32 v160, 0xbe8c1d8e, v54 :: v_dual_add_f32 v161, v161, v171
	v_mul_f32_e32 v171, 0xbeb8f4ab, v166
	s_delay_alu instid0(VALU_DEP_1) | instskip(NEXT) | instid1(VALU_DEP_1)
	v_fma_f32 v165, 0x3f6eb680, v57, -v171
	v_add_f32_e32 v161, v165, v161
	v_fma_f32 v165, 0xbf59a7d5, v59, -v176
	s_delay_alu instid0(VALU_DEP_1) | instskip(SKIP_1) | instid1(VALU_DEP_1)
	v_dual_fmac_f32 v176, 0xbf59a7d5, v59 :: v_dual_add_f32 v161, v165, v161
	v_fma_f32 v165, 0x3dbcf732, v66, -v232
	v_dual_fmac_f32 v232, 0x3dbcf732, v66 :: v_dual_add_f32 v161, v165, v161
	v_fma_f32 v165, 0x3f3d2fb0, v72, -v197
	s_delay_alu instid0(VALU_DEP_1) | instskip(SKIP_1) | instid1(VALU_DEP_1)
	v_add_f32_e32 v161, v165, v161
	v_fma_f32 v165, 0xbf7ba420, v74, -v205
	v_add_f32_e32 v161, v165, v161
	v_fmamk_f32 v165, v148, 0x3ee437d1, v233
	s_delay_alu instid0(VALU_DEP_1) | instskip(SKIP_1) | instid1(VALU_DEP_1)
	v_add_f32_e32 v166, v165, v152
	v_fma_f32 v152, 0x3ee437d1, v79, -v218
	v_dual_fmac_f32 v218, 0x3ee437d1, v79 :: v_dual_add_f32 v165, v152, v161
	v_add_f32_e32 v152, v168, v155
	v_fma_f32 v155, 0xbf59a7d5, v54, -v175
	s_delay_alu instid0(VALU_DEP_1) | instskip(SKIP_1) | instid1(VALU_DEP_1)
	v_dual_add_f32 v152, v156, v152 :: v_dual_add_f32 v155, v155, v162
	v_fma_f32 v156, 0x3f3d2fb0, v57, -v177
	v_dual_add_f32 v152, v170, v152 :: v_dual_add_f32 v155, v156, v155
	v_fma_f32 v156, 0x3ee437d1, v59, -v180
	s_delay_alu instid0(VALU_DEP_1) | instskip(SKIP_1) | instid1(VALU_DEP_1)
	v_dual_add_f32 v152, v179, v152 :: v_dual_add_f32 v155, v156, v155
	v_fma_f32 v156, 0xbf7ba420, v66, -v182
	v_dual_add_f32 v152, v181, v152 :: v_dual_add_f32 v155, v156, v155
	v_fma_f32 v156, 0x3dbcf732, v72, -v215
	s_delay_alu instid0(VALU_DEP_2) | instskip(NEXT) | instid1(VALU_DEP_2)
	v_add_f32_e32 v152, v192, v152
	v_add_f32_e32 v155, v156, v155
	v_fma_f32 v156, 0x3f6eb680, v74, -v229
	s_delay_alu instid0(VALU_DEP_1) | instskip(SKIP_1) | instid1(VALU_DEP_1)
	v_add_f32_e32 v155, v156, v155
	v_fma_f32 v156, 0xbf1a4643, v79, -v231
	v_add_f32_e32 v163, v156, v155
	v_mul_f32_e32 v155, 0xbf7ba420, v54
	s_delay_alu instid0(VALU_DEP_1) | instskip(SKIP_2) | instid1(VALU_DEP_3)
	v_sub_f32_e32 v155, v155, v204
	v_add_f32_e32 v164, v230, v152
	v_mul_f32_e32 v152, 0xbf7ba420, v55
	v_add_f32_e32 v123, v155, v123
	s_delay_alu instid0(VALU_DEP_2) | instskip(NEXT) | instid1(VALU_DEP_1)
	v_dual_mul_f32 v155, 0xbe8c1d8e, v57 :: v_dual_add_f32 v152, v208, v152
	v_sub_f32_e32 v155, v155, v206
	s_delay_alu instid0(VALU_DEP_2) | instskip(NEXT) | instid1(VALU_DEP_2)
	v_dual_add_f32 v121, v152, v121 :: v_dual_mul_f32 v152, 0xbe8c1d8e, v58
	v_add_f32_e32 v123, v155, v123
	s_delay_alu instid0(VALU_DEP_2) | instskip(NEXT) | instid1(VALU_DEP_1)
	v_dual_mul_f32 v155, 0x3f6eb680, v59 :: v_dual_add_f32 v152, v211, v152
	v_sub_f32_e32 v155, v155, v207
	s_delay_alu instid0(VALU_DEP_2) | instskip(NEXT) | instid1(VALU_DEP_2)
	v_dual_add_f32 v121, v152, v121 :: v_dual_mul_f32 v152, 0x3f6eb680, v64
	;; [unrolled: 6-line block ×3, first 2 shown]
	v_add_f32_e32 v123, v155, v123
	v_mul_f32_e32 v155, 0xbf59a7d5, v72
	s_delay_alu instid0(VALU_DEP_1) | instskip(NEXT) | instid1(VALU_DEP_1)
	v_dual_add_f32 v152, v214, v152 :: v_dual_sub_f32 v155, v155, v210
	v_add_f32_e32 v121, v152, v121
	s_delay_alu instid0(VALU_DEP_2) | instskip(SKIP_1) | instid1(VALU_DEP_2)
	v_dual_mul_f32 v152, 0xbf59a7d5, v73 :: v_dual_add_f32 v123, v155, v123
	v_mul_f32_e32 v155, 0x3f3d2fb0, v148
	v_add_f32_e32 v152, v216, v152
	s_delay_alu instid0(VALU_DEP_2) | instskip(NEXT) | instid1(VALU_DEP_2)
	v_add_f32_e32 v155, v220, v155
	v_dual_add_f32 v121, v152, v121 :: v_dual_mul_f32 v152, 0xbf1a4643, v75
	s_delay_alu instid0(VALU_DEP_1) | instskip(NEXT) | instid1(VALU_DEP_1)
	v_add_f32_e32 v152, v217, v152
	v_dual_add_f32 v121, v152, v121 :: v_dual_mul_f32 v152, 0xbf1a4643, v74
	s_delay_alu instid0(VALU_DEP_1) | instskip(NEXT) | instid1(VALU_DEP_2)
	v_add_f32_e32 v186, v155, v121
	v_dual_sub_f32 v152, v152, v212 :: v_dual_mul_f32 v121, 0xbf1a4643, v55
	s_delay_alu instid0(VALU_DEP_1) | instskip(NEXT) | instid1(VALU_DEP_2)
	v_add_f32_e32 v123, v152, v123
	v_dual_mul_f32 v152, 0x3f3d2fb0, v79 :: v_dual_add_f32 v121, v190, v121
	s_delay_alu instid0(VALU_DEP_1) | instskip(NEXT) | instid1(VALU_DEP_1)
	v_dual_sub_f32 v152, v152, v219 :: v_dual_add_f32 v121, v121, v124
	v_dual_mul_f32 v124, 0xbf1a4643, v54 :: v_dual_add_f32 v185, v152, v123
	s_delay_alu instid0(VALU_DEP_1) | instskip(NEXT) | instid1(VALU_DEP_1)
	v_dual_mul_f32 v123, 0xbf7ba420, v58 :: v_dual_sub_f32 v124, v124, v184
	v_add_f32_e32 v123, v193, v123
	s_delay_alu instid0(VALU_DEP_1) | instskip(SKIP_1) | instid1(VALU_DEP_1)
	v_add_f32_e32 v121, v123, v121
	v_mul_f32_e32 v123, 0xbe8c1d8e, v64
	v_add_f32_e32 v123, v195, v123
	s_delay_alu instid0(VALU_DEP_1) | instskip(SKIP_1) | instid1(VALU_DEP_1)
	v_add_f32_e32 v121, v123, v121
	v_mul_f32_e32 v123, 0x3f3d2fb0, v67
	v_add_f32_e32 v123, v199, v123
	s_delay_alu instid0(VALU_DEP_1) | instskip(SKIP_2) | instid1(VALU_DEP_2)
	v_add_f32_e32 v121, v123, v121
	v_dual_add_f32 v123, v124, v126 :: v_dual_mul_f32 v124, 0xbf7ba420, v57
	v_mul_f32_e32 v126, 0x3f6eb680, v73
	v_sub_f32_e32 v124, v124, v187
	s_delay_alu instid0(VALU_DEP_2) | instskip(NEXT) | instid1(VALU_DEP_2)
	v_add_f32_e32 v126, v200, v126
	v_add_f32_e32 v123, v124, v123
	s_delay_alu instid0(VALU_DEP_2) | instskip(SKIP_1) | instid1(VALU_DEP_2)
	v_dual_mul_f32 v124, 0xbe8c1d8e, v59 :: v_dual_add_f32 v121, v126, v121
	v_mul_f32_e32 v126, 0x3dbcf732, v75
	v_dual_sub_f32 v124, v124, v188 :: v_dual_fmac_f32 v171, 0x3f6eb680, v57
	s_delay_alu instid0(VALU_DEP_2) | instskip(NEXT) | instid1(VALU_DEP_2)
	v_dual_add_f32 v126, v198, v126 :: v_dual_fmac_f32 v197, 0x3f3d2fb0, v72
	v_dual_add_f32 v123, v124, v123 :: v_dual_mul_f32 v124, 0x3f3d2fb0, v66
	s_delay_alu instid0(VALU_DEP_2) | instskip(NEXT) | instid1(VALU_DEP_2)
	v_dual_add_f32 v121, v126, v121 :: v_dual_mul_f32 v126, 0xbf59a7d5, v148
	v_sub_f32_e32 v124, v124, v189
	s_delay_alu instid0(VALU_DEP_1) | instskip(SKIP_1) | instid1(VALU_DEP_2)
	v_dual_add_f32 v126, v202, v126 :: v_dual_add_f32 v123, v124, v123
	v_mul_f32_e32 v124, 0x3f6eb680, v72
	v_add_f32_e32 v188, v126, v121
	scratch_load_b32 v126, off, off offset:80 th:TH_LOAD_LU ; 4-byte Folded Reload
	v_mul_f32_e32 v121, 0x3dbcf732, v55
	v_dual_sub_f32 v124, v124, v191 :: v_dual_fmac_f32 v205, 0xbf7ba420, v74
	s_delay_alu instid0(VALU_DEP_1) | instskip(NEXT) | instid1(VALU_DEP_1)
	v_dual_add_f32 v123, v124, v123 :: v_dual_mul_f32 v124, 0x3dbcf732, v74
	v_sub_f32_e32 v124, v124, v194
	s_delay_alu instid0(VALU_DEP_1) | instskip(SKIP_1) | instid1(VALU_DEP_1)
	v_add_f32_e32 v123, v124, v123
	v_mul_f32_e32 v124, 0xbf59a7d5, v79
	v_sub_f32_e32 v124, v124, v201
	s_delay_alu instid0(VALU_DEP_1)
	v_add_f32_e32 v187, v124, v123
	s_clause 0x1
	scratch_load_b32 v123, off, off offset:92 th:TH_LOAD_LU
	scratch_load_b32 v124, off, off offset:104 th:TH_LOAD_LU
	s_wait_loadcnt 0x1
	v_add_f32_e32 v121, v123, v121
	v_mul_f32_e32 v123, 0xbf1a4643, v58
	s_delay_alu instid0(VALU_DEP_2) | instskip(SKIP_3) | instid1(VALU_DEP_1)
	v_add_f32_e32 v121, v121, v127
	scratch_load_b32 v127, off, off offset:84 th:TH_LOAD_LU ; 4-byte Folded Reload
	s_wait_loadcnt 0x1
	v_dual_add_f32 v123, v124, v123 :: v_dual_mul_f32 v124, 0x3dbcf732, v54
	v_dual_add_f32 v121, v123, v121 :: v_dual_sub_f32 v124, v124, v126
	scratch_load_b32 v126, off, off offset:112 th:TH_LOAD_LU ; 4-byte Folded Reload
	v_mul_f32_e32 v123, 0xbf7ba420, v64
	s_wait_loadcnt 0x0
	s_delay_alu instid0(VALU_DEP_1) | instskip(SKIP_1) | instid1(VALU_DEP_1)
	v_dual_add_f32 v124, v124, v128 :: v_dual_add_f32 v123, v126, v123
	v_mul_f32_e32 v126, 0xbf1a4643, v57
	v_dual_add_f32 v121, v123, v121 :: v_dual_sub_f32 v126, v126, v127
	scratch_load_b32 v127, off, off offset:116 th:TH_LOAD_LU ; 4-byte Folded Reload
	v_dual_mul_f32 v123, 0xbf59a7d5, v67 :: v_dual_add_f32 v124, v126, v124
	v_mul_f32_e32 v126, 0xbf7ba420, v59
	s_wait_loadcnt 0x0
	s_delay_alu instid0(VALU_DEP_2)
	v_add_f32_e32 v123, v127, v123
	scratch_load_b32 v127, off, off offset:88 th:TH_LOAD_LU ; 4-byte Folded Reload
	v_add_f32_e32 v121, v123, v121
	s_wait_loadcnt 0x0
	v_dual_mul_f32 v123, 0xbe8c1d8e, v73 :: v_dual_sub_f32 v126, v126, v127
	scratch_load_b32 v127, off, off offset:120 th:TH_LOAD_LU ; 4-byte Folded Reload
	v_add_f32_e32 v124, v126, v124
	s_wait_loadcnt 0x0
	v_dual_mul_f32 v126, 0xbf59a7d5, v66 :: v_dual_add_f32 v123, v127, v123
	scratch_load_b32 v127, off, off offset:96 th:TH_LOAD_LU ; 4-byte Folded Reload
	v_add_f32_e32 v121, v123, v121
	v_mul_f32_e32 v123, 0x3ee437d1, v75
	s_wait_loadcnt 0x0
	v_sub_f32_e32 v126, v126, v127
	scratch_load_b32 v127, off, off offset:128 th:TH_LOAD_LU ; 4-byte Folded Reload
	v_add_f32_e32 v124, v126, v124
	s_wait_loadcnt 0x0
	v_dual_mul_f32 v126, 0xbe8c1d8e, v72 :: v_dual_add_f32 v123, v127, v123
	scratch_load_b32 v127, off, off offset:100 th:TH_LOAD_LU ; 4-byte Folded Reload
	s_wait_loadcnt 0x0
	v_dual_add_f32 v121, v123, v121 :: v_dual_sub_f32 v126, v126, v127
	scratch_load_b32 v127, off, off offset:124 th:TH_LOAD_LU ; 4-byte Folded Reload
	v_add_f32_e32 v123, v126, v124
	scratch_load_b32 v126, off, off offset:108 th:TH_LOAD_LU ; 4-byte Folded Reload
	v_mul_f32_e32 v124, 0x3ee437d1, v74
	s_wait_loadcnt 0x0
	s_delay_alu instid0(VALU_DEP_1) | instskip(NEXT) | instid1(VALU_DEP_1)
	v_sub_f32_e32 v124, v124, v126
	v_dual_mul_f32 v126, 0x3f6eb680, v148 :: v_dual_add_f32 v123, v124, v123
	s_delay_alu instid0(VALU_DEP_1) | instskip(SKIP_1) | instid1(VALU_DEP_2)
	v_add_f32_e32 v126, v183, v126
	v_mul_f32_e32 v124, 0x3f6eb680, v79
	v_add_f32_e32 v168, v126, v121
	s_delay_alu instid0(VALU_DEP_2) | instskip(SKIP_1) | instid1(VALU_DEP_2)
	v_sub_f32_e32 v124, v124, v127
	v_add_f32_e32 v121, v172, v133
	v_add_f32_e32 v167, v124, v123
	v_add_f32_e32 v123, v173, v144
	s_delay_alu instid0(VALU_DEP_3) | instskip(NEXT) | instid1(VALU_DEP_2)
	v_add_f32_e32 v121, v121, v134
	v_add_f32_e32 v123, v123, v145
	s_delay_alu instid0(VALU_DEP_2) | instskip(NEXT) | instid1(VALU_DEP_2)
	v_add_f32_e32 v121, v121, v135
	v_add_f32_e32 v123, v123, v146
	s_delay_alu instid0(VALU_DEP_2) | instskip(NEXT) | instid1(VALU_DEP_2)
	;; [unrolled: 3-line block ×4, first 2 shown]
	v_add_f32_e32 v70, v121, v138
	v_add_f32_e32 v69, v69, v71
	s_delay_alu instid0(VALU_DEP_1) | instskip(NEXT) | instid1(VALU_DEP_1)
	v_dual_add_f32 v70, v70, v139 :: v_dual_add_f32 v69, v69, v76
	v_dual_add_f32 v70, v70, v140 :: v_dual_add_f32 v69, v69, v147
	s_delay_alu instid0(VALU_DEP_1) | instskip(NEXT) | instid1(VALU_DEP_1)
	v_add_f32_e32 v70, v70, v142
	v_dual_add_f32 v68, v69, v68 :: v_dual_add_f32 v69, v70, v143
	s_delay_alu instid0(VALU_DEP_1) | instskip(NEXT) | instid1(VALU_DEP_2)
	v_add_f32_e32 v65, v68, v65
	v_add_f32_e32 v68, v69, v141
	s_delay_alu instid0(VALU_DEP_2) | instskip(NEXT) | instid1(VALU_DEP_1)
	v_add_f32_e32 v63, v65, v63
	v_dual_add_f32 v65, v68, v132 :: v_dual_add_f32 v62, v63, v62
	s_delay_alu instid0(VALU_DEP_1)
	v_add_f32_e32 v63, v65, v131
	scratch_load_b32 v65, off, off offset:44 th:TH_LOAD_LU ; 4-byte Folded Reload
	v_dual_add_f32 v61, v62, v61 :: v_dual_add_f32 v62, v63, v130
	s_clause 0x1
	scratch_load_b32 v63, off, off offset:64 th:TH_LOAD_LU
	scratch_load_b32 v68, off, off offset:48 th:TH_LOAD_LU
	v_dual_add_f32 v60, v61, v60 :: v_dual_add_f32 v61, v62, v129
	scratch_load_b32 v62, off, off offset:56 th:TH_LOAD_LU ; 4-byte Folded Reload
	v_add_f32_e32 v60, v60, v56
	v_mul_f32_e32 v56, 0x3f3d2fb0, v55
	v_fma_f32 v55, 0xbe8c1d8e, v55, -v151
	ds_store_b64 v120, v[60:61]
	s_wait_loadcnt 0x0
	v_dual_add_f32 v55, v55, v157 :: v_dual_add_f32 v56, v62, v56
	v_mul_f32_e32 v62, 0x3ee437d1, v58
	v_fma_f32 v58, 0x3f6eb680, v58, -v153
	s_delay_alu instid0(VALU_DEP_3) | instskip(NEXT) | instid1(VALU_DEP_3)
	v_add_f32_e32 v56, v56, v149
	v_add_f32_e32 v62, v63, v62
	v_mul_f32_e32 v63, 0x3f3d2fb0, v54
	v_mul_f32_e32 v54, 0xbf59a7d5, v75
	v_add_f32_e32 v55, v58, v55
	v_fma_f32 v58, 0xbf59a7d5, v64, -v154
	s_delay_alu instid0(VALU_DEP_4) | instskip(SKIP_4) | instid1(VALU_DEP_2)
	v_dual_add_f32 v56, v62, v56 :: v_dual_sub_f32 v63, v63, v65
	scratch_load_b32 v65, off, off offset:68 th:TH_LOAD_LU ; 4-byte Folded Reload
	v_dual_mul_f32 v62, 0x3dbcf732, v64 :: v_dual_add_f32 v55, v58, v55
	v_add_f32_e32 v63, v63, v150
	s_wait_loadcnt 0x0
	v_dual_add_f32 v62, v65, v62 :: v_dual_mul_f32 v65, 0x3ee437d1, v57
	v_mul_f32_e32 v57, 0xbf1a4643, v72
	s_delay_alu instid0(VALU_DEP_2) | instskip(NEXT) | instid1(VALU_DEP_3)
	v_add_f32_e32 v56, v62, v56
	v_sub_f32_e32 v65, v65, v68
	scratch_load_b32 v68, off, off offset:72 th:TH_LOAD_LU ; 4-byte Folded Reload
	v_mul_f32_e32 v62, 0xbe8c1d8e, v67
	v_add_f32_e32 v63, v65, v63
	v_mul_f32_e32 v65, 0x3dbcf732, v59
	v_mul_f32_e32 v59, 0xbf59a7d5, v74
	s_wait_loadcnt 0x0
	v_add_f32_e32 v62, v68, v62
	scratch_load_b32 v68, off, off offset:52 th:TH_LOAD_LU ; 4-byte Folded Reload
	v_add_f32_e32 v56, v62, v56
	s_wait_loadcnt 0x0
	v_dual_mul_f32 v62, 0xbf1a4643, v73 :: v_dual_sub_f32 v65, v65, v68
	scratch_load_b32 v68, off, off offset:76 th:TH_LOAD_LU ; 4-byte Folded Reload
	v_add_f32_e32 v63, v65, v63
	v_mul_f32_e32 v65, 0xbe8c1d8e, v66
	s_wait_loadcnt 0x0
	v_add_f32_e32 v62, v68, v62
	scratch_load_b32 v68, off, off offset:60 th:TH_LOAD_LU ; 4-byte Folded Reload
	v_add_f32_e32 v56, v62, v56
	scratch_load_b32 v62, off, off offset:40 th:TH_LOAD_LU ; 4-byte Folded Reload
	s_wait_loadcnt 0x0
	v_dual_sub_f32 v65, v65, v68 :: v_dual_add_f32 v54, v62, v54
	s_delay_alu instid0(VALU_DEP_1) | instskip(SKIP_2) | instid1(VALU_DEP_1)
	v_add_f32_e32 v62, v65, v63
	scratch_load_b32 v65, off, off offset:36 th:TH_LOAD_LU ; 4-byte Folded Reload
	v_dual_add_f32 v63, v160, v174 :: v_dual_add_f32 v54, v54, v56
	v_add_f32_e32 v63, v171, v63
	s_delay_alu instid0(VALU_DEP_1) | instskip(SKIP_2) | instid1(VALU_DEP_1)
	v_add_f32_e32 v58, v176, v63
	scratch_load_b32 v63, off, off offset:32 th:TH_LOAD_LU ; 4-byte Folded Reload
	v_add_f32_e32 v58, v232, v58
	v_add_f32_e32 v58, v197, v58
	s_delay_alu instid0(VALU_DEP_1) | instskip(SKIP_2) | instid1(VALU_DEP_1)
	v_add_f32_e32 v58, v205, v58
	s_wait_loadcnt 0x1
	v_sub_f32_e32 v57, v57, v65
	v_add_f32_e32 v56, v57, v62
	scratch_load_b32 v62, off, off offset:28 th:TH_LOAD_LU ; 4-byte Folded Reload
	v_fma_f32 v57, 0x3dbcf732, v67, -v158
	s_delay_alu instid0(VALU_DEP_1) | instskip(SKIP_1) | instid1(VALU_DEP_1)
	v_add_f32_e32 v55, v57, v55
	v_fma_f32 v57, 0x3f3d2fb0, v73, -v159
	v_add_f32_e32 v55, v57, v55
	v_fma_f32 v57, 0xbf7ba420, v75, -v169
	s_delay_alu instid0(VALU_DEP_1) | instskip(SKIP_2) | instid1(VALU_DEP_1)
	v_add_f32_e32 v57, v57, v55
	s_wait_loadcnt 0x0
	v_dual_sub_f32 v59, v59, v62 :: v_dual_mul_f32 v62, 0xbf7ba420, v148
	v_add_f32_e32 v56, v59, v56
	s_delay_alu instid0(VALU_DEP_2)
	v_add_f32_e32 v62, v63, v62
	scratch_load_b32 v63, off, off offset:24 th:TH_LOAD_LU ; 4-byte Folded Reload
	v_mul_f32_e32 v59, 0xbf7ba420, v79
	v_add_f32_e32 v55, v62, v54
	scratch_load_b32 v54, off, off          ; 4-byte Folded Reload
	s_wait_loadcnt 0x1
	v_sub_f32_e32 v59, v59, v63
	v_fma_f32 v63, 0x3ee437d1, v148, -v233
	s_wait_loadcnt 0x0
	v_lshl_add_u32 v62, v119, 3, v54
	s_delay_alu instid0(VALU_DEP_3)
	v_add_f32_e32 v54, v59, v56
	v_add_f32_e32 v56, v218, v58
	ds_store_2addr_b64 v62, v[54:55], v[167:168] offset0:52 offset1:104
	ds_store_2addr_b64 v62, v[187:188], v[185:186] offset0:156 offset1:208
	v_add_nc_u32_e32 v58, 0x800, v62
	v_dual_add_f32 v57, v63, v57 :: v_dual_add_nc_u32 v54, 0xc00, v62
	v_add_nc_u32_e32 v55, 0x1000, v62
	v_add_nc_u32_e32 v59, 0x1800, v62
	ds_store_2addr_b64 v58, v[163:164], v[165:166] offset0:4 offset1:56
	ds_store_2addr_b64 v58, v[227:228], v[225:226] offset0:108 offset1:160
	;; [unrolled: 1-line block ×6, first 2 shown]
.LBB0_9:
	s_wait_alu 0xfffe
	s_or_b32 exec_lo, exec_lo, s1
	s_add_nc_u64 s[8:9], s[8:9], 0x1ba0
	global_wb scope:SCOPE_SE
	s_wait_storecnt_dscnt 0x0
	s_barrier_signal -1
	s_barrier_wait -1
	global_inv scope:SCOPE_SE
	s_clause 0xc
	global_load_b64 v[117:118], v[117:118], off offset:7072
	global_load_b64 v[130:131], v122, s[8:9] offset:544
	global_load_b64 v[132:133], v122, s[8:9] offset:1088
	;; [unrolled: 1-line block ×12, first 2 shown]
	scratch_load_b32 v56, off, off          ; 4-byte Folded Reload
	ds_load_2addr_b64 v[52:55], v120 offset1:68
	v_add_nc_u32_e32 v121, 0x400, v120
	v_add_nc_u32_e32 v72, 0x800, v120
	;; [unrolled: 1-line block ×3, first 2 shown]
	s_wait_loadcnt_dscnt 0xd00
	v_dual_mul_f32 v124, v53, v118 :: v_dual_add_nc_u32 v129, 0x1000, v120
	s_wait_loadcnt 0xc
	v_dual_mul_f32 v157, v52, v118 :: v_dual_mul_f32 v118, v54, v131
	ds_load_2addr_b64 v[60:63], v72 offset0:84 offset1:152
	v_mul_f32_e32 v126, v55, v131
	v_fma_f32 v156, v52, v117, -v124
	v_dual_fmac_f32 v157, v53, v117 :: v_dual_fmac_f32 v118, v55, v130
	s_delay_alu instid0(VALU_DEP_3)
	v_fma_f32 v117, v54, v130, -v126
	s_wait_loadcnt 0x0
	v_lshl_add_u32 v79, v119, 3, v56
	ds_load_2addr_b64 v[56:59], v121 offset0:8 offset1:144
	v_add_nc_u32_e32 v122, 0x1400, v120
	ds_load_b64 v[154:155], v79 offset:1632
	s_wait_dscnt 0x2
	v_dual_mul_f32 v159, v61, v139 :: v_dual_mul_f32 v160, v63, v141
	s_wait_dscnt 0x1
	v_mul_f32_e32 v127, v57, v133
	ds_load_2addr_b64 v[64:67], v123 offset0:92 offset1:160
	ds_load_2addr_b64 v[68:71], v129 offset0:100 offset1:168
	;; [unrolled: 1-line block ×3, first 2 shown]
	v_mul_f32_e32 v131, v56, v133
	v_mul_f32_e32 v158, v59, v137
	s_wait_dscnt 0x3
	v_mul_f32_e32 v128, v155, v135
	v_mul_f32_e32 v133, v154, v135
	;; [unrolled: 1-line block ×5, first 2 shown]
	v_fma_f32 v130, v56, v132, -v127
	v_fmac_f32_e32 v131, v57, v132
	v_fma_f32 v132, v154, v134, -v128
	v_fmac_f32_e32 v133, v155, v134
	;; [unrolled: 2-line block ×4, first 2 shown]
	s_wait_dscnt 0x1
	v_dual_mul_f32 v161, v65, v143 :: v_dual_mul_f32 v164, v71, v149
	v_dual_mul_f32 v141, v64, v143 :: v_dual_mul_f32 v162, v67, v145
	v_mul_f32_e32 v143, v66, v145
	s_wait_dscnt 0x0
	v_dual_mul_f32 v163, v69, v147 :: v_dual_mul_f32 v166, v76, v153
	v_mul_f32_e32 v145, v68, v147
	v_mul_f32_e32 v147, v70, v149
	v_mul_f32_e32 v165, v74, v151
	v_mul_f32_e32 v149, v73, v151
	v_mul_f32_e32 v151, v75, v153
	v_fmac_f32_e32 v137, v61, v138
	v_fma_f32 v138, v62, v140, -v160
	v_fma_f32 v140, v64, v142, -v161
	v_fmac_f32_e32 v141, v65, v142
	v_fma_f32 v142, v66, v144, -v162
	v_fmac_f32_e32 v143, v67, v144
	;; [unrolled: 2-line block ×6, first 2 shown]
	ds_store_2addr_b64 v120, v[156:157], v[117:118] offset1:68
	ds_store_b64 v79, v[132:133] offset:1632
	ds_store_2addr_b64 v121, v[130:131], v[134:135] offset0:8 offset1:144
	ds_store_2addr_b64 v72, v[136:137], v[138:139] offset0:84 offset1:152
	;; [unrolled: 1-line block ×5, first 2 shown]
	global_wb scope:SCOPE_SE
	s_wait_dscnt 0x0
	s_barrier_signal -1
	s_barrier_wait -1
	global_inv scope:SCOPE_SE
	ds_load_2addr_b64 v[68:71], v120 offset1:68
	ds_load_2addr_b64 v[60:63], v122 offset0:108 offset1:176
	ds_load_2addr_b64 v[73:76], v121 offset0:8 offset1:144
	ds_load_b64 v[117:118], v79 offset:1632
	ds_load_2addr_b64 v[64:67], v129 offset0:100 offset1:168
	ds_load_2addr_b64 v[52:55], v72 offset0:84 offset1:152
	ds_load_2addr_b64 v[56:59], v123 offset0:92 offset1:160
	global_wb scope:SCOPE_SE
	s_wait_dscnt 0x0
	s_barrier_signal -1
	s_barrier_wait -1
	global_inv scope:SCOPE_SE
	v_add_f32_e32 v124, v62, v70
	v_add_f32_e32 v128, v61, v74
	v_add_f32_e32 v123, v69, v71
	v_add_f32_e32 v126, v63, v71
	v_add_f32_e32 v132, v66, v117
	v_sub_f32_e32 v135, v118, v67
	v_sub_f32_e32 v131, v74, v61
	v_mul_f32_e32 v153, 0x3f116cb1, v128
	v_mul_f32_e32 v155, 0xbeb58ec6, v128
	;; [unrolled: 1-line block ×6, first 2 shown]
	v_add_f32_e32 v74, v123, v74
	v_dual_sub_f32 v71, v71, v63 :: v_dual_sub_f32 v130, v73, v60
	v_add_f32_e32 v136, v64, v75
	v_sub_f32_e32 v134, v117, v66
	s_delay_alu instid0(VALU_DEP_4) | instskip(NEXT) | instid1(VALU_DEP_4)
	v_add_f32_e32 v74, v74, v118
	v_mul_f32_e32 v144, 0xbf52af12, v71
	v_mul_f32_e32 v146, 0xbf7e222b, v71
	;; [unrolled: 1-line block ×5, first 2 shown]
	v_fmamk_f32 v188, v124, 0x3f116cb1, v144
	v_dual_mul_f32 v162, 0xbf7e222b, v135 :: v_dual_add_f32 v121, v68, v70
	v_mul_f32_e32 v158, 0x3f29c268, v131
	v_dual_sub_f32 v70, v70, v62 :: v_dual_add_f32 v127, v60, v73
	v_dual_mul_f32 v160, 0x3f7e222b, v131 :: v_dual_add_f32 v133, v67, v118
	v_dual_mul_f32 v164, 0xbe750f2a, v135 :: v_dual_sub_f32 v139, v76, v65
	v_dual_mul_f32 v168, 0x3eedf032, v135 :: v_dual_add_f32 v73, v121, v73
	v_mul_f32_e32 v156, 0xbe750f2a, v131
	v_fmamk_f32 v190, v124, 0x3df6dbef, v146
	s_delay_alu instid0(VALU_DEP_4)
	v_mul_f32_e32 v172, 0xbf6f5d39, v139
	v_fma_f32 v146, 0x3df6dbef, v124, -v146
	v_dual_mul_f32 v121, 0xbeedf032, v71 :: v_dual_add_f32 v74, v74, v76
	v_mul_f32_e32 v150, 0xbf29c268, v71
	v_mul_f32_e32 v151, 0xbf3f9e67, v126
	;; [unrolled: 1-line block ×6, first 2 shown]
	v_dual_mul_f32 v165, 0xbf788fa5, v133 :: v_dual_fmamk_f32 v200, v127, 0xbf788fa5, v156
	v_dual_mul_f32 v174, 0x3f29c268, v139 :: v_dual_add_f32 v73, v73, v117
	v_fmamk_f32 v192, v124, 0xbeb58ec6, v148
	v_dual_fmamk_f32 v193, v70, 0x3f6f5d39, v149 :: v_dual_add_f32 v146, v68, v146
	v_fma_f32 v156, 0xbf788fa5, v127, -v156
	v_fmamk_f32 v207, v130, 0xbeedf032, v128
	v_fmac_f32_e32 v128, 0x3eedf032, v130
	v_dual_mul_f32 v123, 0x3f62ad3f, v126 :: v_dual_fmamk_f32 v206, v127, 0x3f62ad3f, v131
	v_mul_f32_e32 v126, 0xbf788fa5, v126
	v_dual_mul_f32 v180, 0x3e750f2a, v139 :: v_dual_add_f32 v141, v59, v53
	v_mul_f32_e32 v170, 0xbf52af12, v135
	s_delay_alu instid0(VALU_DEP_4)
	v_dual_sub_f32 v143, v53, v59 :: v_dual_fmamk_f32 v118, v70, 0x3eedf032, v123
	v_mul_f32_e32 v71, 0xbe750f2a, v71
	v_fma_f32 v144, 0x3f116cb1, v124, -v144
	v_fmac_f32_e32 v123, 0xbeedf032, v70
	v_fma_f32 v148, 0xbeb58ec6, v124, -v148
	v_fmamk_f32 v194, v124, 0xbf3f9e67, v150
	v_fma_f32 v150, 0xbf3f9e67, v124, -v150
	v_dual_add_f32 v144, v68, v144 :: v_dual_fmamk_f32 v197, v70, 0x3e750f2a, v126
	v_dual_fmamk_f32 v224, v136, 0xbf788fa5, v180 :: v_dual_add_f32 v73, v73, v75
	v_fmamk_f32 v117, v124, 0x3f62ad3f, v121
	v_fma_f32 v121, 0x3f62ad3f, v124, -v121
	v_dual_add_f32 v137, v65, v76 :: v_dual_mul_f32 v166, 0x3f6f5d39, v135
	v_sub_f32_e32 v138, v75, v64
	v_add_f32_e32 v140, v58, v52
	v_dual_sub_f32 v142, v52, v58 :: v_dual_mul_f32 v163, 0x3df6dbef, v133
	s_delay_alu instid0(VALU_DEP_4)
	v_dual_mul_f32 v167, 0xbeb58ec6, v133 :: v_dual_fmamk_f32 v210, v132, 0xbeb58ec6, v166
	v_dual_mul_f32 v169, 0x3f62ad3f, v133 :: v_dual_fmamk_f32 v212, v132, 0x3f62ad3f, v168
	v_dual_mul_f32 v135, 0xbf29c268, v135 :: v_dual_add_f32 v76, v69, v118
	v_mul_f32_e32 v176, 0x3eedf032, v139
	v_mul_f32_e32 v178, 0xbf7e222b, v139
	;; [unrolled: 1-line block ×3, first 2 shown]
	v_dual_mul_f32 v184, 0x3f7e222b, v143 :: v_dual_fmamk_f32 v191, v70, 0x3f7e222b, v147
	v_mul_f32_e32 v186, 0xbf52af12, v143
	v_dual_mul_f32 v187, 0x3f116cb1, v141 :: v_dual_add_f32 v118, v69, v123
	v_fmamk_f32 v189, v70, 0x3f52af12, v145
	v_fmac_f32_e32 v145, 0xbf52af12, v70
	v_fmac_f32_e32 v147, 0xbf7e222b, v70
	;; [unrolled: 1-line block ×3, first 2 shown]
	v_dual_fmamk_f32 v195, v70, 0x3f29c268, v151 :: v_dual_add_f32 v148, v68, v148
	v_fmac_f32_e32 v151, 0xbf29c268, v70
	v_fmac_f32_e32 v126, 0xbe750f2a, v70
	v_fmamk_f32 v196, v124, 0xbf788fa5, v71
	v_fma_f32 v71, 0xbf788fa5, v124, -v71
	v_fmamk_f32 v70, v127, 0x3f116cb1, v152
	v_fma_f32 v152, 0x3f116cb1, v127, -v152
	;; [unrolled: 2-line block ×3, first 2 shown]
	v_dual_fmamk_f32 v201, v130, 0x3e750f2a, v157 :: v_dual_add_f32 v150, v68, v150
	v_fmamk_f32 v202, v127, 0xbf3f9e67, v158
	v_fma_f32 v158, 0xbf3f9e67, v127, -v158
	v_fmamk_f32 v204, v127, 0x3df6dbef, v160
	v_fma_f32 v160, 0x3df6dbef, v127, -v160
	v_fmamk_f32 v214, v132, 0x3f116cb1, v170
	v_dual_mul_f32 v139, 0x3f52af12, v139 :: v_dual_fmamk_f32 v124, v130, 0x3f52af12, v153
	v_dual_fmac_f32 v153, 0xbf52af12, v130 :: v_dual_add_f32 v52, v73, v52
	v_add_f32_e32 v75, v68, v117
	v_add_f32_e32 v117, v68, v121
	;; [unrolled: 1-line block ×4, first 2 shown]
	v_dual_add_f32 v190, v68, v192 :: v_dual_fmamk_f32 v199, v130, 0x3f6f5d39, v155
	v_add_f32_e32 v192, v68, v194
	v_fmac_f32_e32 v155, 0xbf6f5d39, v130
	v_fma_f32 v127, 0x3f62ad3f, v127, -v131
	v_dual_fmamk_f32 v209, v134, 0x3e750f2a, v165 :: v_dual_add_f32 v150, v160, v150
	v_dual_fmamk_f32 v211, v134, 0xbf6f5d39, v167 :: v_dual_add_f32 v52, v52, v54
	v_fma_f32 v170, 0x3f116cb1, v132, -v170
	v_add_f32_e32 v123, v69, v189
	v_add_f32_e32 v145, v69, v145
	v_dual_add_f32 v147, v69, v147 :: v_dual_add_f32 v194, v68, v196
	v_fmamk_f32 v203, v130, 0xbf29c268, v159
	v_dual_fmac_f32 v159, 0x3f29c268, v130 :: v_dual_add_f32 v68, v68, v71
	v_fmamk_f32 v205, v130, 0xbf7e222b, v161
	v_add_f32_e32 v53, v74, v53
	v_add_f32_e32 v71, v124, v76
	v_dual_add_f32 v73, v152, v117 :: v_dual_add_f32 v74, v153, v118
	v_dual_add_f32 v117, v154, v144 :: v_dual_add_f32 v124, v156, v146
	v_add_f32_e32 v144, v202, v190
	v_dual_fmac_f32 v157, 0xbe750f2a, v130 :: v_dual_add_f32 v70, v70, v75
	v_fmac_f32_e32 v161, 0x3f7e222b, v130
	v_fmamk_f32 v130, v132, 0x3df6dbef, v162
	v_fmamk_f32 v131, v134, 0x3f7e222b, v163
	v_dual_fmac_f32 v163, 0xbf7e222b, v134 :: v_dual_add_f32 v146, v158, v148
	v_fmamk_f32 v213, v134, 0xbeedf032, v169
	v_fmac_f32_e32 v169, 0x3eedf032, v134
	v_dual_mul_f32 v177, 0x3f62ad3f, v137 :: v_dual_fmamk_f32 v220, v136, 0x3f62ad3f, v176
	v_dual_mul_f32 v185, 0x3df6dbef, v141 :: v_dual_fmamk_f32 v228, v140, 0x3df6dbef, v184
	s_delay_alu instid0(VALU_DEP_2) | instskip(SKIP_1) | instid1(VALU_DEP_2)
	v_dual_add_f32 v52, v52, v56 :: v_dual_fmamk_f32 v221, v138, 0xbeedf032, v177
	v_dual_mul_f32 v175, 0xbf3f9e67, v137 :: v_dual_fmamk_f32 v218, v136, 0xbf3f9e67, v174
	v_dual_fmamk_f32 v229, v142, 0xbf7e222b, v185 :: v_dual_add_f32 v52, v52, v58
	v_dual_mul_f32 v181, 0xbf788fa5, v137 :: v_dual_fmamk_f32 v208, v132, 0xbf788fa5, v164
	v_add_f32_e32 v76, v199, v123
	v_add_f32_e32 v70, v130, v70
	s_delay_alu instid0(VALU_DEP_4)
	v_dual_add_f32 v75, v198, v121 :: v_dual_add_f32 v52, v52, v64
	v_dual_mul_f32 v171, 0x3f116cb1, v133 :: v_dual_fmamk_f32 v226, v136, 0x3f116cb1, v139
	v_dual_mul_f32 v133, 0xbf3f9e67, v133 :: v_dual_fmamk_f32 v216, v132, 0xbf3f9e67, v135
	v_mul_f32_e32 v173, 0xbeb58ec6, v137
	v_dual_mul_f32 v179, 0x3df6dbef, v137 :: v_dual_fmamk_f32 v222, v136, 0x3df6dbef, v178
	v_dual_fmac_f32 v167, 0x3f6f5d39, v134 :: v_dual_add_f32 v76, v209, v76
	v_fma_f32 v178, 0x3df6dbef, v136, -v178
	v_add_f32_e32 v189, v69, v191
	v_dual_add_f32 v191, v69, v193 :: v_dual_add_f32 v52, v52, v66
	v_add_f32_e32 v148, v204, v192
	v_add_f32_e32 v152, v206, v194
	v_fmamk_f32 v219, v138, 0xbf29c268, v175
	v_add_f32_e32 v75, v208, v75
	v_fma_f32 v162, 0x3df6dbef, v132, -v162
	v_fma_f32 v164, 0xbf788fa5, v132, -v164
	v_dual_fmac_f32 v165, 0xbe750f2a, v134 :: v_dual_add_f32 v68, v127, v68
	v_fma_f32 v166, 0xbeb58ec6, v132, -v166
	v_fma_f32 v168, 0x3f62ad3f, v132, -v168
	;; [unrolled: 1-line block ×3, first 2 shown]
	v_add_f32_e32 v193, v69, v195
	v_dual_add_f32 v151, v69, v151 :: v_dual_add_f32 v52, v52, v60
	v_add_f32_e32 v195, v69, v197
	v_dual_add_f32 v118, v155, v145 :: v_dual_fmamk_f32 v215, v134, 0x3f52af12, v171
	v_dual_fmac_f32 v171, 0xbf52af12, v134 :: v_dual_add_f32 v124, v166, v124
	v_add_f32_e32 v145, v203, v191
	v_dual_add_f32 v74, v163, v74 :: v_dual_add_f32 v127, v212, v144
	v_add_f32_e32 v144, v214, v148
	v_dual_add_f32 v148, v216, v152 :: v_dual_fmac_f32 v177, 0x3eedf032, v138
	v_dual_add_f32 v76, v219, v76 :: v_dual_add_f32 v75, v218, v75
	v_add_f32_e32 v149, v69, v149
	v_add_f32_e32 v69, v69, v126
	v_dual_add_f32 v126, v157, v147 :: v_dual_fmamk_f32 v217, v134, 0x3f29c268, v133
	v_fmac_f32_e32 v133, 0xbf29c268, v134
	v_fmamk_f32 v134, v136, 0xbeb58ec6, v172
	v_dual_fmamk_f32 v135, v138, 0x3f6f5d39, v173 :: v_dual_add_f32 v130, v168, v146
	v_dual_fmac_f32 v173, 0xbf6f5d39, v138 :: v_dual_add_f32 v60, v229, v76
	v_add_f32_e32 v53, v53, v55
	v_dual_mul_f32 v137, 0x3f116cb1, v137 :: v_dual_fmamk_f32 v230, v140, 0x3f116cb1, v186
	v_add_f32_e32 v52, v52, v62
	v_dual_mul_f32 v62, 0x3e750f2a, v143 :: v_dual_add_f32 v69, v128, v69
	s_delay_alu instid0(VALU_DEP_4) | instskip(NEXT) | instid1(VALU_DEP_4)
	v_dual_add_f32 v53, v53, v57 :: v_dual_add_f32 v126, v167, v126
	v_fmamk_f32 v227, v138, 0xbf52af12, v137
	v_dual_fmac_f32 v137, 0x3f52af12, v138 :: v_dual_add_f32 v128, v213, v145
	s_delay_alu instid0(VALU_DEP_4) | instskip(NEXT) | instid1(VALU_DEP_4)
	v_add_f32_e32 v69, v133, v69
	v_add_f32_e32 v53, v53, v59
	v_mul_f32_e32 v183, 0xbf3f9e67, v141
	v_fma_f32 v174, 0xbf3f9e67, v136, -v174
	v_dual_fmac_f32 v175, 0x3f29c268, v138 :: v_dual_add_f32 v68, v132, v68
	v_add_f32_e32 v118, v165, v118
	v_dual_add_f32 v132, v224, v144 :: v_dual_add_f32 v53, v53, v65
	v_dual_add_f32 v64, v137, v69 :: v_dual_add_f32 v71, v131, v71
	v_mul_f32_e32 v76, 0xbf788fa5, v141
	v_add_f32_e32 v117, v164, v117
	v_fma_f32 v172, 0xbeb58ec6, v136, -v172
	v_fma_f32 v176, 0x3f62ad3f, v136, -v176
	v_dual_fmamk_f32 v223, v138, 0x3f7e222b, v179 :: v_dual_add_f32 v74, v173, v74
	v_fmac_f32_e32 v179, 0xbf7e222b, v138
	v_dual_fmamk_f32 v225, v138, 0xbe750f2a, v181 :: v_dual_add_f32 v118, v175, v118
	v_fma_f32 v180, 0xbf788fa5, v136, -v180
	s_delay_alu instid0(VALU_DEP_4)
	v_dual_fmac_f32 v181, 0x3e750f2a, v138 :: v_dual_add_f32 v128, v223, v128
	v_fma_f32 v136, 0x3f116cb1, v136, -v139
	v_fmamk_f32 v138, v140, 0xbf3f9e67, v182
	v_fma_f32 v184, 0x3df6dbef, v140, -v184
	v_fmac_f32_e32 v185, 0x3f7e222b, v142
	v_add_f32_e32 v146, v170, v150
	v_dual_add_f32 v68, v136, v68 :: v_dual_fmamk_f32 v139, v142, 0x3f29c268, v183
	v_dual_fmac_f32 v183, 0xbf29c268, v142 :: v_dual_add_f32 v58, v226, v148
	v_add_f32_e32 v71, v135, v71
	v_add_f32_e32 v117, v174, v117
	v_dual_add_f32 v53, v53, v67 :: v_dual_add_f32 v70, v134, v70
	v_add_f32_e32 v124, v176, v124
	s_delay_alu instid0(VALU_DEP_4) | instskip(SKIP_1) | instid1(VALU_DEP_4)
	v_dual_add_f32 v134, v180, v146 :: v_dual_add_f32 v69, v139, v71
	v_add_f32_e32 v67, v183, v74
	v_add_f32_e32 v53, v53, v61
	;; [unrolled: 1-line block ×4, first 2 shown]
	v_fma_f32 v74, 0x3f116cb1, v140, -v186
	v_fmamk_f32 v117, v142, 0xbe750f2a, v76
	v_dual_mul_f32 v118, 0x3eedf032, v143 :: v_dual_add_f32 v121, v200, v188
	v_fmac_f32_e32 v76, 0x3e750f2a, v142
	s_delay_alu instid0(VALU_DEP_4) | instskip(NEXT) | instid1(VALU_DEP_4)
	v_add_f32_e32 v74, v74, v124
	v_dual_add_f32 v73, v162, v73 :: v_dual_add_f32 v124, v117, v128
	s_delay_alu instid0(VALU_DEP_4) | instskip(SKIP_2) | instid1(VALU_DEP_4)
	v_fmamk_f32 v117, v140, 0x3f62ad3f, v118
	v_fma_f32 v182, 0xbf3f9e67, v140, -v182
	v_add_f32_e32 v153, v207, v195
	v_dual_add_f32 v73, v172, v73 :: v_dual_add_f32 v126, v177, v126
	s_delay_alu instid0(VALU_DEP_4)
	v_add_f32_e32 v128, v117, v132
	v_fma_f32 v117, 0x3f62ad3f, v140, -v118
	v_mul_f32_e32 v118, 0xbeb58ec6, v141
	v_add_f32_e32 v121, v210, v121
	v_add_f32_e32 v130, v178, v130
	;; [unrolled: 1-line block ×6, first 2 shown]
	v_fmamk_f32 v73, v142, 0x3f52af12, v187
	v_fmac_f32_e32 v187, 0xbf52af12, v142
	v_fmamk_f32 v75, v140, 0xbf788fa5, v62
	v_fma_f32 v62, 0xbf788fa5, v140, -v62
	v_add_f32_e32 v123, v201, v189
	v_add_f32_e32 v53, v53, v63
	v_add_f32_e32 v63, v230, v121
	v_add_f32_e32 v121, v187, v126
	s_delay_alu instid0(VALU_DEP_4) | instskip(SKIP_1) | instid1(VALU_DEP_2)
	v_dual_add_f32 v126, v62, v130 :: v_dual_add_f32 v123, v211, v123
	v_dual_sub_f32 v132, v55, v57 :: v_dual_add_f32 v127, v222, v127
	v_add_f32_e32 v123, v221, v123
	s_delay_alu instid0(VALU_DEP_2) | instskip(SKIP_1) | instid1(VALU_DEP_3)
	v_add_f32_e32 v75, v75, v127
	v_mul_f32_e32 v127, 0xbf6f5d39, v143
	v_add_f32_e32 v73, v73, v123
	v_mul_f32_e32 v123, 0x3f62ad3f, v141
	s_delay_alu instid0(VALU_DEP_1) | instskip(NEXT) | instid1(VALU_DEP_1)
	v_dual_add_f32 v147, v159, v149 :: v_dual_fmamk_f32 v62, v142, 0xbeedf032, v123
	v_add_f32_e32 v131, v169, v147
	v_fmac_f32_e32 v123, 0x3eedf032, v142
	s_delay_alu instid0(VALU_DEP_2) | instskip(NEXT) | instid1(VALU_DEP_1)
	v_add_f32_e32 v131, v179, v131
	v_dual_add_f32 v149, v205, v193 :: v_dual_add_f32 v76, v76, v131
	s_delay_alu instid0(VALU_DEP_1) | instskip(SKIP_1) | instid1(VALU_DEP_2)
	v_add_f32_e32 v145, v215, v149
	v_add_f32_e32 v131, v117, v134
	v_dual_add_f32 v134, v56, v54 :: v_dual_add_f32 v133, v225, v145
	s_delay_alu instid0(VALU_DEP_1) | instskip(NEXT) | instid1(VALU_DEP_1)
	v_dual_add_f32 v151, v161, v151 :: v_dual_add_f32 v130, v62, v133
	v_dual_add_f32 v147, v171, v151 :: v_dual_fmamk_f32 v62, v140, 0xbeb58ec6, v127
	s_delay_alu instid0(VALU_DEP_1) | instskip(NEXT) | instid1(VALU_DEP_2)
	v_add_f32_e32 v135, v181, v147
	v_add_f32_e32 v133, v62, v58
	v_fmamk_f32 v58, v142, 0x3f6f5d39, v118
	v_mul_f32_e32 v62, 0xbe750f2a, v132
	s_delay_alu instid0(VALU_DEP_4)
	v_dual_fmac_f32 v118, 0xbf6f5d39, v142 :: v_dual_add_f32 v123, v123, v135
	v_add_f32_e32 v135, v57, v55
	v_fma_f32 v55, 0xbeb58ec6, v140, -v127
	v_sub_f32_e32 v127, v54, v56
	v_mul_f32_e32 v57, 0x3eedf032, v132
	v_fmamk_f32 v54, v134, 0xbf788fa5, v62
	v_dual_mul_f32 v56, 0xbf788fa5, v135 :: v_dual_add_f32 v149, v217, v153
	v_add_f32_e32 v137, v55, v68
	v_add_f32_e32 v138, v118, v64
	s_delay_alu instid0(VALU_DEP_3) | instskip(NEXT) | instid1(VALU_DEP_4)
	v_dual_add_f32 v54, v54, v65 :: v_dual_fmamk_f32 v55, v127, 0x3e750f2a, v56
	v_dual_fmac_f32 v56, 0xbe750f2a, v127 :: v_dual_add_f32 v59, v227, v149
	v_mul_f32_e32 v64, 0xbf29c268, v132
	v_mul_f32_e32 v65, 0xbf3f9e67, v135
	;; [unrolled: 1-line block ×3, first 2 shown]
	s_delay_alu instid0(VALU_DEP_4) | instskip(SKIP_4) | instid1(VALU_DEP_2)
	v_add_f32_e32 v118, v56, v67
	v_add_f32_e32 v136, v58, v59
	v_fma_f32 v58, 0xbf788fa5, v134, -v62
	v_dual_mul_f32 v59, 0x3f62ad3f, v135 :: v_dual_fmamk_f32 v62, v134, 0x3f62ad3f, v57
	v_mul_f32_e32 v67, 0x3f116cb1, v135
	v_dual_add_f32 v117, v58, v66 :: v_dual_fmamk_f32 v58, v127, 0xbeedf032, v59
	s_delay_alu instid0(VALU_DEP_3)
	v_add_f32_e32 v56, v62, v70
	v_fma_f32 v62, 0x3f62ad3f, v134, -v57
	v_fmac_f32_e32 v59, 0x3eedf032, v127
	v_mul_f32_e32 v66, 0x3f52af12, v132
	v_add_f32_e32 v57, v58, v60
	v_fmamk_f32 v60, v134, 0xbf3f9e67, v64
	v_dual_add_f32 v58, v62, v61 :: v_dual_fmamk_f32 v61, v127, 0x3f29c268, v65
	v_fmac_f32_e32 v65, 0xbf29c268, v127
	v_add_f32_e32 v59, v59, v71
	s_delay_alu instid0(VALU_DEP_4)
	v_add_f32_e32 v60, v60, v63
	v_fma_f32 v62, 0xbf3f9e67, v134, -v64
	v_mul_f32_e32 v71, 0xbeb58ec6, v135
	v_add_f32_e32 v63, v65, v121
	v_fmamk_f32 v65, v127, 0xbf52af12, v67
	v_fmac_f32_e32 v67, 0x3f52af12, v127
	v_dual_fmamk_f32 v64, v134, 0x3f116cb1, v66 :: v_dual_add_f32 v61, v61, v73
	v_add_f32_e32 v62, v62, v74
	v_fmamk_f32 v70, v127, 0x3f6f5d39, v71
	s_delay_alu instid0(VALU_DEP_3)
	v_dual_add_f32 v67, v67, v76 :: v_dual_add_f32 v64, v64, v75
	v_fma_f32 v73, 0xbeb58ec6, v134, -v68
	v_dual_mul_f32 v74, 0x3f7e222b, v132 :: v_dual_add_f32 v55, v55, v69
	v_fmamk_f32 v69, v134, 0xbeb58ec6, v68
	v_mul_f32_e32 v76, 0x3df6dbef, v135
	v_fma_f32 v66, 0x3f116cb1, v134, -v66
	s_delay_alu instid0(VALU_DEP_4) | instskip(NEXT) | instid1(VALU_DEP_4)
	v_fma_f32 v121, 0x3df6dbef, v134, -v74
	v_dual_fmac_f32 v71, 0xbf6f5d39, v127 :: v_dual_add_f32 v68, v69, v128
	v_dual_add_f32 v69, v70, v130 :: v_dual_add_f32 v70, v73, v131
	v_fmamk_f32 v73, v134, 0x3df6dbef, v74
	v_fmamk_f32 v75, v127, 0xbf7e222b, v76
	v_dual_fmac_f32 v76, 0x3f7e222b, v127 :: v_dual_add_f32 v65, v65, v124
	s_delay_alu instid0(VALU_DEP_3) | instskip(NEXT) | instid1(VALU_DEP_3)
	v_dual_add_f32 v66, v66, v126 :: v_dual_add_f32 v73, v73, v133
	v_dual_add_f32 v74, v75, v136 :: v_dual_add_f32 v75, v121, v137
	s_delay_alu instid0(VALU_DEP_3)
	v_dual_add_f32 v76, v76, v138 :: v_dual_add_f32 v71, v71, v123
	ds_store_2addr_b64 v125, v[52:53], v[54:55] offset1:1
	ds_store_2addr_b64 v125, v[56:57], v[60:61] offset0:2 offset1:3
	ds_store_2addr_b64 v125, v[64:65], v[68:69] offset0:4 offset1:5
	;; [unrolled: 1-line block ×5, first 2 shown]
	ds_store_b64 v125, v[117:118] offset:96
	global_wb scope:SCOPE_SE
	s_wait_dscnt 0x0
	s_barrier_signal -1
	s_barrier_wait -1
	global_inv scope:SCOPE_SE
	ds_load_2addr_b64 v[57:60], v120 offset1:68
	ds_load_2addr_b64 v[53:56], v120 offset0:136 offset1:221
	ds_load_2addr_b64 v[73:76], v72 offset0:186 offset1:254
	;; [unrolled: 1-line block ×5, first 2 shown]
	s_and_saveexec_b32 s1, vcc_lo
	s_cbranch_execz .LBB0_11
; %bb.10:
	v_add_nc_u32_e32 v48, 0xd00, v120
	ds_load_2addr_b64 v[48:51], v48 offset0:9 offset1:230
	ds_load_b64 v[117:118], v79 offset:1632
	ds_load_b64 v[115:116], v120 offset:6936
.LBB0_11:
	s_wait_alu 0xfffe
	s_or_b32 exec_lo, exec_lo, s1
	s_wait_dscnt 0x3
	v_dual_mul_f32 v52, v25, v56 :: v_dual_mul_f32 v121, v27, v74
	s_wait_dscnt 0x2
	v_dual_mul_f32 v25, v25, v55 :: v_dual_mul_f32 v122, v114, v64
	s_delay_alu instid0(VALU_DEP_2) | instskip(NEXT) | instid1(VALU_DEP_3)
	v_dual_mul_f32 v27, v27, v73 :: v_dual_fmac_f32 v52, v24, v55
	v_fmac_f32_e32 v121, v26, v73
	s_delay_alu instid0(VALU_DEP_3) | instskip(NEXT) | instid1(VALU_DEP_4)
	v_fma_f32 v24, v24, v56, -v25
	v_fmac_f32_e32 v122, v113, v63
	s_delay_alu instid0(VALU_DEP_4)
	v_fma_f32 v25, v26, v74, -v27
	s_wait_dscnt 0x1
	v_dual_mul_f32 v26, v114, v63 :: v_dual_mul_f32 v27, v21, v70
	v_mul_f32_e32 v56, v13, v72
	v_mul_f32_e32 v55, v23, v76
	v_mul_f32_e32 v23, v23, v75
	s_delay_alu instid0(VALU_DEP_4) | instskip(SKIP_4) | instid1(VALU_DEP_4)
	v_fma_f32 v26, v113, v64, -v26
	v_mul_f32_e32 v64, v9, v49
	v_fmac_f32_e32 v27, v20, v69
	v_mul_f32_e32 v13, v13, v71
	v_dual_mul_f32 v21, v21, v69 :: v_dual_fmac_f32 v56, v12, v71
	v_dual_fmac_f32 v64, v8, v48 :: v_dual_fmac_f32 v55, v22, v75
	s_delay_alu instid0(VALU_DEP_3) | instskip(SKIP_1) | instid1(VALU_DEP_4)
	v_fma_f32 v12, v12, v72, -v13
	v_mul_f32_e32 v13, v15, v61
	v_fma_f32 v20, v20, v70, -v21
	v_fma_f32 v21, v22, v76, -v23
	s_wait_dscnt 0x0
	v_mul_f32_e32 v22, v112, v66
	v_mul_f32_e32 v23, v112, v65
	;; [unrolled: 1-line block ×3, first 2 shown]
	v_fma_f32 v13, v14, v62, -v13
	v_mul_f32_e32 v62, v11, v51
	v_dual_fmac_f32 v22, v111, v65 :: v_dual_mul_f32 v9, v9, v48
	v_sub_f32_e32 v48, v57, v121
	v_dual_fmac_f32 v63, v14, v61 :: v_dual_sub_f32 v26, v24, v26
	v_mul_f32_e32 v61, v110, v67
	v_sub_f32_e32 v65, v52, v122
	v_fmac_f32_e32 v62, v10, v50
	v_dual_mul_f32 v11, v11, v50 :: v_dual_mul_f32 v50, v108, v116
	s_delay_alu instid0(VALU_DEP_4) | instskip(SKIP_2) | instid1(VALU_DEP_4)
	v_fma_f32 v14, v109, v68, -v61
	v_fma_f32 v23, v111, v66, -v23
	v_dual_sub_f32 v66, v60, v21 :: v_dual_sub_f32 v55, v59, v55
	v_fmac_f32_e32 v50, v107, v115
	s_delay_alu instid0(VALU_DEP_4)
	v_sub_f32_e32 v14, v12, v14
	v_fma_f32 v61, v8, v49, -v9
	v_sub_f32_e32 v49, v58, v25
	v_fma_f32 v8, v57, 2.0, -v48
	v_fma_f32 v25, v52, 2.0, -v65
	v_mul_f32_e32 v15, v110, v68
	v_fma_f32 v52, v24, 2.0, -v26
	v_add_f32_e32 v26, v48, v26
	v_fma_f32 v9, v58, 2.0, -v49
	s_delay_alu instid0(VALU_DEP_4) | instskip(SKIP_2) | instid1(VALU_DEP_4)
	v_dual_sub_f32 v24, v8, v25 :: v_dual_fmac_f32 v15, v109, v67
	v_sub_f32_e32 v58, v27, v22
	v_fma_f32 v51, v10, v51, -v11
	v_dual_sub_f32 v25, v9, v52 :: v_dual_sub_f32 v22, v20, v23
	v_mul_f32_e32 v57, v108, v115
	v_fma_f32 v23, v59, 2.0, -v55
	v_fma_f32 v11, v27, 2.0, -v58
	;; [unrolled: 1-line block ×4, first 2 shown]
	v_add_f32_e32 v22, v55, v22
	v_fma_f32 v57, v107, v116, -v57
	v_sub_f32_e32 v20, v23, v11
	s_delay_alu instid0(VALU_DEP_4) | instskip(SKIP_2) | instid1(VALU_DEP_4)
	v_dual_sub_f32 v60, v53, v63 :: v_dual_sub_f32 v21, v59, v21
	v_sub_f32_e32 v27, v49, v65
	v_sub_f32_e32 v65, v54, v13
	v_fma_f32 v52, v23, 2.0, -v20
	v_sub_f32_e32 v23, v66, v58
	v_sub_f32_e32 v58, v117, v62
	;; [unrolled: 1-line block ×4, first 2 shown]
	global_wb scope:SCOPE_SE
	s_barrier_signal -1
	s_barrier_wait -1
	global_inv scope:SCOPE_SE
	v_fma_f32 v62, v64, 2.0, -v63
	scratch_load_b32 v64, off, off offset:20 th:TH_LOAD_LU ; 4-byte Folded Reload
	v_fma_f32 v8, v8, 2.0, -v24
	v_fma_f32 v9, v9, 2.0, -v25
	;; [unrolled: 1-line block ×3, first 2 shown]
	v_add_f32_e32 v50, v60, v14
	v_fma_f32 v11, v49, 2.0, -v27
	v_fma_f32 v13, v53, 2.0, -v60
	v_sub_f32_e32 v15, v56, v15
	v_fma_f32 v53, v59, 2.0, -v21
	v_sub_f32_e32 v59, v118, v51
	v_fma_f32 v12, v12, 2.0, -v14
	v_fma_f32 v61, v61, 2.0, -v57
	;; [unrolled: 1-line block ×7, first 2 shown]
	v_sub_f32_e32 v48, v13, v48
	v_fma_f32 v67, v118, 2.0, -v59
	v_sub_f32_e32 v49, v56, v12
	v_sub_f32_e32 v51, v65, v15
	v_fma_f32 v14, v60, 2.0, -v50
	s_delay_alu instid0(VALU_DEP_4)
	v_dual_sub_f32 v60, v66, v62 :: v_dual_sub_f32 v61, v67, v61
	v_dual_add_f32 v62, v58, v57 :: v_dual_sub_f32 v63, v59, v63
	v_fma_f32 v12, v13, 2.0, -v48
	v_fma_f32 v13, v56, 2.0, -v49
	;; [unrolled: 1-line block ×7, first 2 shown]
	s_wait_loadcnt 0x0
	ds_store_2addr_b64 v64, v[8:9], v[10:11] offset1:13
	ds_store_2addr_b64 v64, v[24:25], v[26:27] offset0:26 offset1:39
	scratch_load_b32 v64, off, off offset:16 th:TH_LOAD_LU ; 4-byte Folded Reload
	s_wait_loadcnt 0x0
	ds_store_2addr_b64 v64, v[52:53], v[54:55] offset1:13
	ds_store_2addr_b64 v64, v[20:21], v[22:23] offset0:26 offset1:39
	scratch_load_b32 v64, off, off offset:12 th:TH_LOAD_LU ; 4-byte Folded Reload
	s_wait_loadcnt 0x0
	ds_store_2addr_b64 v64, v[12:13], v[14:15] offset1:13
	ds_store_2addr_b64 v64, v[48:49], v[50:51] offset0:26 offset1:39
	s_and_saveexec_b32 s1, vcc_lo
	s_cbranch_execz .LBB0_13
; %bb.12:
	s_clause 0x1
	scratch_load_b32 v64, off, off offset:4 th:TH_LOAD_LU
	scratch_load_b32 v65, off, off offset:8 th:TH_LOAD_LU
	s_wait_loadcnt 0x0
	v_mad_u16 v64, v64, 52, v65
	scratch_load_b32 v65, off, off th:TH_LOAD_LU ; 4-byte Folded Reload
	v_and_b32_e32 v64, 0xffff, v64
	s_wait_loadcnt 0x0
	s_delay_alu instid0(VALU_DEP_1)
	v_lshl_add_u32 v64, v64, 3, v65
	ds_store_2addr_b64 v64, v[56:57], v[58:59] offset1:13
	ds_store_2addr_b64 v64, v[60:61], v[62:63] offset0:26 offset1:39
.LBB0_13:
	s_wait_alu 0xfffe
	s_or_b32 exec_lo, exec_lo, s1
	global_wb scope:SCOPE_SE
	s_wait_dscnt 0x0
	s_barrier_signal -1
	s_barrier_wait -1
	global_inv scope:SCOPE_SE
	s_and_saveexec_b32 s1, s0
	s_cbranch_execz .LBB0_15
; %bb.14:
	v_add_nc_u32_e32 v12, 0x400, v120
	v_add_nc_u32_e32 v13, 0x800, v120
	;; [unrolled: 1-line block ×4, first 2 shown]
	ds_load_2addr_b64 v[8:11], v120 offset1:52
	ds_load_2addr_b64 v[24:27], v120 offset0:104 offset1:156
	ds_load_2addr_b64 v[52:55], v12 offset0:80 offset1:132
	;; [unrolled: 1-line block ×7, first 2 shown]
	ds_load_b64 v[77:78], v120 offset:6656
.LBB0_15:
	s_wait_alu 0xfffe
	s_or_b32 exec_lo, exec_lo, s1
	s_and_saveexec_b32 s1, s0
	s_cbranch_execz .LBB0_17
; %bb.16:
	s_wait_dscnt 0x0
	v_dual_mul_f32 v65, v37, v11 :: v_dual_mul_f32 v64, v47, v78
	v_dual_mul_f32 v66, v47, v77 :: v_dual_mul_f32 v67, v37, v10
	s_delay_alu instid0(VALU_DEP_2) | instskip(SKIP_1) | instid1(VALU_DEP_3)
	v_dual_fmac_f32 v65, v36, v10 :: v_dual_fmac_f32 v64, v46, v77
	v_mul_f32_e32 v47, v39, v25
	v_fma_f32 v46, v46, v78, -v66
	s_delay_alu instid0(VALU_DEP_4)
	v_fma_f32 v66, v36, v11, -v67
	v_mul_f32_e32 v10, v45, v62
	v_sub_f32_e32 v36, v65, v64
	v_mul_f32_e32 v37, v45, v63
	v_fmac_f32_e32 v47, v38, v24
	v_add_f32_e32 v67, v46, v66
	v_mul_f32_e32 v11, v39, v24
	s_delay_alu instid0(VALU_DEP_4) | instskip(SKIP_2) | instid1(VALU_DEP_4)
	v_dual_mul_f32 v112, 0xbf65296c, v36 :: v_dual_fmac_f32 v37, v44, v62
	v_fma_f32 v39, v44, v63, -v10
	v_mul_f32_e32 v44, v29, v27
	v_fma_f32 v62, v38, v25, -v11
	s_delay_alu instid0(VALU_DEP_4) | instskip(SKIP_1) | instid1(VALU_DEP_4)
	v_fmamk_f32 v10, v67, 0x3ee437d1, v112
	v_sub_f32_e32 v24, v47, v37
	v_dual_mul_f32 v45, v31, v53 :: v_dual_fmac_f32 v44, v28, v26
	v_mul_f32_e32 v38, v43, v61
	v_mul_f32_e32 v43, v43, v60
	s_delay_alu instid0(VALU_DEP_4) | instskip(SKIP_3) | instid1(VALU_DEP_3)
	v_mul_f32_e32 v113, 0xbf4c4adb, v24
	v_add_f32_e32 v63, v39, v62
	v_mul_f32_e32 v26, v29, v26
	v_dual_fmac_f32 v38, v42, v60 :: v_dual_mul_f32 v29, v41, v59
	v_dual_add_f32 v10, v9, v10 :: v_dual_fmamk_f32 v11, v63, 0xbf1a4643, v113
	v_fma_f32 v42, v42, v61, -v43
	s_delay_alu instid0(VALU_DEP_4) | instskip(NEXT) | instid1(VALU_DEP_4)
	v_fma_f32 v60, v28, v27, -v26
	v_sub_f32_e32 v25, v44, v38
	s_delay_alu instid0(VALU_DEP_4) | instskip(SKIP_2) | instid1(VALU_DEP_4)
	v_dual_fmac_f32 v45, v30, v52 :: v_dual_add_f32 v10, v11, v10
	v_dual_mul_f32 v27, v41, v58 :: v_dual_mul_f32 v28, v31, v52
	v_dual_fmac_f32 v29, v40, v58 :: v_dual_mul_f32 v52, v17, v55
	v_dual_add_f32 v68, v42, v60 :: v_dual_mul_f32 v115, 0x3e3c28d5, v25
	s_delay_alu instid0(VALU_DEP_3) | instskip(NEXT) | instid1(VALU_DEP_3)
	v_fma_f32 v41, v40, v59, -v27
	v_sub_f32_e32 v26, v45, v29
	v_fma_f32 v58, v30, v53, -v28
	s_delay_alu instid0(VALU_DEP_4) | instskip(SKIP_1) | instid1(VALU_DEP_4)
	v_dual_mul_f32 v40, v35, v57 :: v_dual_fmamk_f32 v11, v68, 0xbf7ba420, v115
	v_fmac_f32_e32 v52, v16, v54
	v_mul_f32_e32 v114, 0x3f763a35, v26
	s_delay_alu instid0(VALU_DEP_3) | instskip(NEXT) | instid1(VALU_DEP_4)
	v_dual_add_f32 v69, v41, v58 :: v_dual_fmac_f32 v40, v34, v56
	v_add_f32_e32 v10, v11, v10
	v_dual_mul_f32 v17, v17, v54 :: v_dual_mul_f32 v54, v19, v21
	s_delay_alu instid0(VALU_DEP_3) | instskip(SKIP_2) | instid1(VALU_DEP_4)
	v_fmamk_f32 v11, v69, 0xbe8c1d8e, v114
	v_dual_mul_f32 v43, v33, v51 :: v_dual_sub_f32 v74, v60, v42
	v_sub_f32_e32 v75, v58, v41
	v_fmac_f32_e32 v54, v18, v20
	s_delay_alu instid0(VALU_DEP_4) | instskip(SKIP_4) | instid1(VALU_DEP_4)
	v_add_f32_e32 v10, v11, v10
	v_mul_f32_e32 v11, v35, v56
	v_fmac_f32_e32 v43, v32, v50
	v_sub_f32_e32 v76, v66, v46
	v_dual_add_f32 v30, v38, v44 :: v_dual_add_f32 v31, v29, v45
	v_fma_f32 v53, v34, v57, -v11
	v_fma_f32 v57, v16, v55, -v17
	v_dual_mul_f32 v11, v33, v50 :: v_dual_mul_f32 v50, v7, v49
	v_mul_f32_e32 v16, v19, v20
	v_dual_sub_f32 v27, v52, v40 :: v_dual_sub_f32 v20, v54, v43
	s_delay_alu instid0(VALU_DEP_4) | instskip(NEXT) | instid1(VALU_DEP_4)
	v_add_f32_e32 v61, v53, v57
	v_fma_f32 v51, v32, v51, -v11
	s_delay_alu instid0(VALU_DEP_4) | instskip(NEXT) | instid1(VALU_DEP_4)
	v_fma_f32 v56, v18, v21, -v16
	v_mul_f32_e32 v117, 0x3f2c7751, v27
	v_dual_mul_f32 v118, 0xbeb8f4ab, v20 :: v_dual_mul_f32 v55, v1, v23
	v_fmac_f32_e32 v50, v6, v48
	s_delay_alu instid0(VALU_DEP_3) | instskip(SKIP_1) | instid1(VALU_DEP_4)
	v_dual_add_f32 v70, v51, v56 :: v_dual_fmamk_f32 v11, v61, 0x3f3d2fb0, v117
	v_mul_f32_e32 v7, v7, v48
	v_fmac_f32_e32 v55, v0, v22
	v_dual_mul_f32 v1, v1, v22 :: v_dual_mul_f32 v126, 0xbf65296c, v76
	s_delay_alu instid0(VALU_DEP_4) | instskip(NEXT) | instid1(VALU_DEP_3)
	v_dual_add_f32 v10, v11, v10 :: v_dual_fmamk_f32 v11, v70, 0x3f6eb680, v118
	v_dual_sub_f32 v21, v55, v50 :: v_dual_mul_f32 v48, v5, v15
	v_fma_f32 v49, v6, v49, -v7
	s_delay_alu instid0(VALU_DEP_4) | instskip(NEXT) | instid1(VALU_DEP_4)
	v_fma_f32 v71, v0, v23, -v1
	v_dual_add_f32 v10, v11, v10 :: v_dual_add_f32 v23, v64, v65
	s_delay_alu instid0(VALU_DEP_4) | instskip(NEXT) | instid1(VALU_DEP_3)
	v_mul_f32_e32 v116, 0xbf7ee86f, v21
	v_dual_mul_f32 v59, v3, v13 :: v_dual_add_f32 v72, v49, v71
	v_sub_f32_e32 v78, v62, v39
	v_fmac_f32_e32 v48, v4, v14
	v_fma_f32 v0, 0x3ee437d1, v23, -v126
	s_delay_alu instid0(VALU_DEP_4) | instskip(SKIP_1) | instid1(VALU_DEP_3)
	v_fmac_f32_e32 v59, v2, v12
	v_dual_fmamk_f32 v1, v72, 0x3dbcf732, v116 :: v_dual_add_f32 v28, v37, v47
	v_dual_mul_f32 v127, 0xbf4c4adb, v78 :: v_dual_add_f32 v0, v8, v0
	s_delay_alu instid0(VALU_DEP_3) | instskip(SKIP_1) | instid1(VALU_DEP_3)
	v_dual_mul_f32 v5, v5, v14 :: v_dual_sub_f32 v22, v59, v48
	v_mul_f32_e32 v121, 0x3e3c28d5, v74
	v_fma_f32 v6, 0xbf1a4643, v28, -v127
	v_dual_mul_f32 v3, v3, v12 :: v_dual_mul_f32 v122, 0x3f763a35, v75
	v_dual_sub_f32 v77, v57, v53 :: v_dual_add_f32 v32, v40, v52
	s_delay_alu instid0(VALU_DEP_3) | instskip(SKIP_1) | instid1(VALU_DEP_4)
	v_dual_add_f32 v33, v43, v54 :: v_dual_add_f32 v0, v6, v0
	v_fma_f32 v6, 0xbf7ba420, v30, -v121
	v_fma_f32 v108, v2, v13, -v3
	;; [unrolled: 1-line block ×3, first 2 shown]
	v_dual_mul_f32 v124, 0x3f2c7751, v77 :: v_dual_sub_f32 v109, v56, v51
	s_delay_alu instid0(VALU_DEP_4) | instskip(SKIP_2) | instid1(VALU_DEP_3)
	v_dual_add_f32 v0, v6, v0 :: v_dual_mul_f32 v123, 0xbf06c442, v22
	v_fma_f32 v73, v4, v15, -v5
	v_dual_mul_f32 v19, 0xbf7ee86f, v36 :: v_dual_add_f32 v34, v50, v55
	v_dual_add_f32 v0, v2, v0 :: v_dual_mul_f32 v125, 0xbeb8f4ab, v109
	v_fma_f32 v2, 0x3f3d2fb0, v32, -v124
	s_delay_alu instid0(VALU_DEP_3) | instskip(SKIP_1) | instid1(VALU_DEP_3)
	v_dual_add_f32 v107, v73, v108 :: v_dual_fmamk_f32 v4, v67, 0x3dbcf732, v19
	v_add_f32_e32 v1, v1, v10
	v_dual_sub_f32 v111, v71, v49 :: v_dual_add_f32 v0, v2, v0
	v_fma_f32 v2, 0x3f6eb680, v33, -v125
	s_delay_alu instid0(VALU_DEP_4) | instskip(SKIP_1) | instid1(VALU_DEP_3)
	v_dual_fmamk_f32 v3, v107, 0xbf59a7d5, v123 :: v_dual_sub_f32 v110, v108, v73
	v_dual_mul_f32 v140, 0x3f763a35, v25 :: v_dual_add_f32 v35, v48, v59
	v_add_f32_e32 v0, v2, v0
	s_delay_alu instid0(VALU_DEP_3) | instskip(SKIP_2) | instid1(VALU_DEP_3)
	v_dual_mul_f32 v138, 0xbe3c28d5, v24 :: v_dual_add_f32 v1, v3, v1
	v_add_f32_e32 v2, v9, v4
	v_dual_mul_f32 v128, 0xbf06c442, v110 :: v_dual_mul_f32 v139, 0xbf06c442, v20
	v_fmamk_f32 v3, v63, 0xbf7ba420, v138
	v_mul_f32_e32 v129, 0xbf7ee86f, v111
	v_dual_mul_f32 v132, 0xbf65296c, v27 :: v_dual_mul_f32 v141, 0xbf65296c, v77
	v_mul_f32_e32 v142, 0xbf7ee86f, v76
	s_delay_alu instid0(VALU_DEP_4) | instskip(NEXT) | instid1(VALU_DEP_4)
	v_add_f32_e32 v2, v3, v2
	v_fma_f32 v4, 0x3dbcf732, v34, -v129
	v_mul_f32_e32 v143, 0xbe3c28d5, v78
	v_mul_f32_e32 v18, 0x3eb8f4ab, v26
	;; [unrolled: 1-line block ×3, first 2 shown]
	s_delay_alu instid0(VALU_DEP_4) | instskip(SKIP_3) | instid1(VALU_DEP_4)
	v_dual_mul_f32 v147, 0xbe3c28d5, v27 :: v_dual_add_f32 v0, v4, v0
	v_fma_f32 v4, 0xbf59a7d5, v35, -v128
	v_fma_f32 v5, 0xbf7ba420, v28, -v143
	v_mul_f32_e32 v134, 0x3eb8f4ab, v75
	v_fmamk_f32 v7, v61, 0xbf7ba420, v147
	v_mul_f32_e32 v130, 0x3f4c4adb, v21
	v_add_f32_e32 v0, v4, v0
	v_fma_f32 v4, 0x3dbcf732, v23, -v142
	v_mul_f32_e32 v16, 0xbf763a35, v36
	v_mul_f32_e32 v17, 0x3f06c442, v24
	;; [unrolled: 1-line block ×3, first 2 shown]
	v_dual_mul_f32 v161, 0x3f65296c, v78 :: v_dual_mul_f32 v186, 0x3f65296c, v109
	v_add_f32_e32 v4, v8, v4
	v_fmamk_f32 v3, v68, 0xbe8c1d8e, v140
	v_fmamk_f32 v6, v63, 0xbf59a7d5, v17
	v_dual_mul_f32 v136, 0x3f4c4adb, v111 :: v_dual_mul_f32 v15, 0x3f4c4adb, v26
	s_delay_alu instid0(VALU_DEP_4) | instskip(NEXT) | instid1(VALU_DEP_4)
	v_add_f32_e32 v4, v5, v4
	v_dual_add_f32 v2, v3, v2 :: v_dual_fmamk_f32 v3, v69, 0x3f6eb680, v18
	v_fma_f32 v5, 0xbe8c1d8e, v30, -v133
	v_mul_f32_e32 v131, 0x3f2c7751, v22
	v_mul_f32_e32 v145, 0x3f2c7751, v25
	;; [unrolled: 1-line block ×3, first 2 shown]
	v_dual_add_f32 v2, v3, v2 :: v_dual_fmamk_f32 v3, v61, 0x3ee437d1, v132
	v_add_f32_e32 v4, v5, v4
	v_fma_f32 v5, 0x3f6eb680, v31, -v134
	v_fma_f32 v11, 0x3ee437d1, v28, -v161
	s_delay_alu instid0(VALU_DEP_4) | instskip(NEXT) | instid1(VALU_DEP_3)
	v_dual_mul_f32 v165, 0x3f4c4adb, v75 :: v_dual_add_f32 v2, v3, v2
	v_dual_fmamk_f32 v3, v70, 0xbf59a7d5, v139 :: v_dual_add_f32 v4, v5, v4
	v_fma_f32 v5, 0x3ee437d1, v32, -v141
	v_mul_f32_e32 v137, 0x3f2c7751, v110
	s_delay_alu instid0(VALU_DEP_3) | instskip(NEXT) | instid1(VALU_DEP_3)
	v_dual_mul_f32 v149, 0x3f7ee86f, v20 :: v_dual_add_f32 v2, v3, v2
	v_dual_fmamk_f32 v3, v72, 0xbf1a4643, v130 :: v_dual_add_f32 v4, v5, v4
	v_fma_f32 v5, 0xbf59a7d5, v33, -v135
	v_fma_f32 v167, 0xbf1a4643, v31, -v165
	s_delay_alu instid0(VALU_DEP_3) | instskip(NEXT) | instid1(VALU_DEP_3)
	v_dual_mul_f32 v151, 0xbeb8f4ab, v21 :: v_dual_add_f32 v2, v3, v2
	v_dual_fmamk_f32 v3, v107, 0x3f3d2fb0, v131 :: v_dual_add_f32 v4, v5, v4
	v_fma_f32 v5, 0xbf1a4643, v34, -v136
	v_mul_f32_e32 v155, 0xbe3c28d5, v77
	v_mul_f32_e32 v13, 0x3f65296c, v24
	s_delay_alu instid0(VALU_DEP_4)
	v_add_f32_e32 v3, v3, v2
	v_fmamk_f32 v2, v67, 0xbe8c1d8e, v16
	v_add_f32_e32 v4, v5, v4
	v_fma_f32 v5, 0x3f3d2fb0, v35, -v137
	v_mul_f32_e32 v176, 0x3eb8f4ab, v78
	v_mul_f32_e32 v153, 0xbf4c4adb, v22
	v_add_f32_e32 v2, v9, v2
	v_dual_mul_f32 v12, 0xbf06c442, v36 :: v_dual_mul_f32 v171, 0xbf06c442, v25
	s_delay_alu instid0(VALU_DEP_4) | instskip(SKIP_1) | instid1(VALU_DEP_4)
	v_fma_f32 v178, 0x3f6eb680, v28, -v176
	v_fmamk_f32 v10, v63, 0x3ee437d1, v13
	v_add_f32_e32 v2, v6, v2
	v_fmamk_f32 v6, v68, 0x3f3d2fb0, v145
	v_mul_f32_e32 v14, 0xbf7ee86f, v25
	v_dual_mul_f32 v156, 0x3f7ee86f, v109 :: v_dual_mul_f32 v185, 0x3f7ee86f, v22
	s_delay_alu instid0(VALU_DEP_3)
	v_dual_mul_f32 v159, 0xbf06c442, v76 :: v_dual_add_f32 v2, v6, v2
	v_fmamk_f32 v6, v69, 0x3ee437d1, v146
	v_mul_f32_e32 v144, 0xbeb8f4ab, v27
	v_mul_f32_e32 v175, 0xbf4c4adb, v27
	v_fmamk_f32 v187, v107, 0x3dbcf732, v185
	v_mul_f32_e32 v160, 0xbe3c28d5, v20
	v_add_f32_e32 v6, v6, v2
	v_add_f32_e32 v2, v5, v4
	v_mul_f32_e32 v177, 0x3f65296c, v20
	v_fmac_f32_e32 v176, 0x3f6eb680, v28
	s_delay_alu instid0(VALU_DEP_4) | instskip(SKIP_3) | instid1(VALU_DEP_3)
	v_dual_mul_f32 v162, 0x3f2c7751, v21 :: v_dual_add_f32 v5, v7, v6
	v_fmamk_f32 v6, v70, 0x3dbcf732, v149
	v_dual_mul_f32 v158, 0xbf4c4adb, v110 :: v_dual_mul_f32 v183, 0xbf4c4adb, v77
	v_mul_f32_e32 v164, 0xbf763a35, v22
	v_dual_mul_f32 v150, 0x3f06c442, v78 :: v_dual_add_f32 v5, v6, v5
	v_fmamk_f32 v6, v72, 0x3f6eb680, v151
	v_mul_f32_e32 v152, 0x3f2c7751, v74
	v_mul_f32_e32 v154, 0xbf65296c, v75
	s_delay_alu instid0(VALU_DEP_4)
	v_fma_f32 v7, 0xbf59a7d5, v28, -v150
	v_fma_f32 v17, 0xbf59a7d5, v63, -v17
	v_dual_add_f32 v5, v6, v5 :: v_dual_fmamk_f32 v6, v107, 0xbf1a4643, v153
	v_mul_f32_e32 v166, 0xbe3c28d5, v36
	v_mul_f32_e32 v168, 0xbeb8f4ab, v77
	v_fma_f32 v145, 0x3f3d2fb0, v68, -v145
	v_fmac_f32_e32 v129, 0x3dbcf732, v34
	v_dual_add_f32 v5, v6, v5 :: v_dual_fmamk_f32 v6, v67, 0xbf59a7d5, v12
	v_fma_f32 v16, 0xbe8c1d8e, v67, -v16
	v_fma_f32 v149, 0x3dbcf732, v70, -v149
	v_mul_f32_e32 v172, 0x3f2c7751, v111
	v_fma_f32 v19, 0x3dbcf732, v67, -v19
	v_add_f32_e32 v6, v9, v6
	v_dual_add_f32 v16, v9, v16 :: v_dual_mul_f32 v157, 0xbeb8f4ab, v111
	v_mul_f32_e32 v174, 0xbe3c28d5, v76
	v_fma_f32 v138, 0xbf7ba420, v63, -v138
	s_delay_alu instid0(VALU_DEP_4) | instskip(SKIP_4) | instid1(VALU_DEP_4)
	v_add_f32_e32 v6, v10, v6
	v_fmamk_f32 v10, v68, 0x3dbcf732, v14
	v_dual_mul_f32 v163, 0xbf7ee86f, v74 :: v_dual_add_f32 v16, v17, v16
	v_fma_f32 v140, 0xbe8c1d8e, v68, -v140
	v_fma_f32 v18, 0x3f6eb680, v69, -v18
	v_add_f32_e32 v6, v10, v6
	v_fmamk_f32 v10, v69, 0xbf1a4643, v15
	v_dual_mul_f32 v169, 0xbe3c28d5, v109 :: v_dual_add_f32 v16, v145, v16
	v_fma_f32 v132, 0x3ee437d1, v61, -v132
	v_fma_f32 v139, 0xbf59a7d5, v70, -v139
	s_delay_alu instid0(VALU_DEP_4)
	v_add_f32_e32 v6, v10, v6
	v_fmamk_f32 v10, v61, 0x3f6eb680, v144
	v_mul_f32_e32 v173, 0x3f2c7751, v26
	v_fmac_f32_e32 v134, 0x3f6eb680, v31
	v_fma_f32 v112, 0x3ee437d1, v67, -v112
	v_mul_f32_e32 v179, 0xbf06c442, v74
	v_add_f32_e32 v6, v10, v6
	v_fmamk_f32 v10, v70, 0xbf7ba420, v160
	v_fma_f32 v130, 0xbf1a4643, v72, -v130
	v_dual_add_f32 v112, v9, v112 :: v_dual_mul_f32 v181, 0x3f2c7751, v75
	v_fma_f32 v113, 0xbf1a4643, v63, -v113
	s_delay_alu instid0(VALU_DEP_4)
	v_add_f32_e32 v6, v10, v6
	v_fmamk_f32 v10, v72, 0x3f3d2fb0, v162
	v_fma_f32 v131, 0x3f3d2fb0, v107, -v131
	v_fma_f32 v12, 0xbf59a7d5, v67, -v12
	v_add_f32_e32 v112, v113, v112
	v_fma_f32 v13, 0x3ee437d1, v63, -v13
	v_add_f32_e32 v6, v10, v6
	v_fmamk_f32 v10, v107, 0xbe8c1d8e, v164
	v_mul_f32_e32 v148, 0xbf763a35, v76
	v_add_f32_e32 v12, v9, v12
	v_fma_f32 v115, 0xbf7ba420, v68, -v115
	v_fmac_f32_e32 v126, 0x3ee437d1, v23
	v_fma_f32 v114, 0xbe8c1d8e, v69, -v114
	v_fma_f32 v4, 0xbe8c1d8e, v23, -v148
	v_add_f32_e32 v12, v13, v12
	v_add_f32_e32 v112, v115, v112
	v_fmac_f32_e32 v136, 0xbf1a4643, v34
	v_add_f32_e32 v126, v8, v126
	v_add_f32_e32 v4, v8, v4
	v_fma_f32 v118, 0x3f6eb680, v70, -v118
	v_add_f32_e32 v112, v114, v112
	v_fma_f32 v114, 0x3f3d2fb0, v61, -v117
	v_fmac_f32_e32 v122, 0xbe8c1d8e, v31
	v_add_f32_e32 v4, v7, v4
	v_fma_f32 v7, 0x3f3d2fb0, v30, -v152
	v_fma_f32 v116, 0x3dbcf732, v72, -v116
	v_add_f32_e32 v114, v114, v112
	v_fmac_f32_e32 v124, 0x3f3d2fb0, v32
	v_fmac_f32_e32 v161, 0x3ee437d1, v28
	v_add_f32_e32 v4, v7, v4
	v_fma_f32 v7, 0x3ee437d1, v31, -v154
	v_fmac_f32_e32 v133, 0xbe8c1d8e, v30
	v_mul_f32_e32 v180, 0xbf763a35, v21
	v_add_f32_e32 v114, v118, v114
	v_mul_f32_e32 v118, 0x3dbcf732, v63
	v_add_f32_e32 v4, v7, v4
	v_fma_f32 v7, 0xbf7ba420, v32, -v155
	v_fmac_f32_e32 v165, 0xbf1a4643, v31
	v_fmac_f32_e32 v155, 0xbf7ba420, v32
	v_add_f32_e32 v19, v9, v19
	v_fmac_f32_e32 v127, 0xbf1a4643, v28
	v_add_f32_e32 v4, v7, v4
	v_fma_f32 v7, 0x3dbcf732, v33, -v156
	s_delay_alu instid0(VALU_DEP_4) | instskip(NEXT) | instid1(VALU_DEP_4)
	v_dual_fmac_f32 v143, 0xbf7ba420, v28 :: v_dual_add_f32 v138, v138, v19
	v_dual_add_f32 v117, v127, v126 :: v_dual_mul_f32 v126, 0x3f3d2fb0, v67
	s_delay_alu instid0(VALU_DEP_3) | instskip(SKIP_1) | instid1(VALU_DEP_4)
	v_add_f32_e32 v4, v7, v4
	v_fma_f32 v7, 0x3f6eb680, v34, -v157
	v_add_f32_e32 v138, v140, v138
	v_fmac_f32_e32 v157, 0x3f6eb680, v34
	v_mul_f32_e32 v127, 0xbe8c1d8e, v70
	v_add_f32_e32 v114, v116, v114
	v_add_f32_e32 v4, v7, v4
	v_fma_f32 v7, 0xbf1a4643, v35, -v158
	v_dual_add_f32 v18, v18, v138 :: v_dual_fmac_f32 v135, 0xbf59a7d5, v33
	v_fmac_f32_e32 v121, 0xbf7ba420, v30
	s_delay_alu instid0(VALU_DEP_3) | instskip(SKIP_1) | instid1(VALU_DEP_4)
	v_dual_fmac_f32 v137, 0x3f3d2fb0, v35 :: v_dual_add_f32 v4, v7, v4
	v_fma_f32 v7, 0xbf59a7d5, v23, -v159
	v_dual_fmac_f32 v159, 0xbf59a7d5, v23 :: v_dual_add_f32 v132, v132, v18
	v_fmac_f32_e32 v141, 0x3ee437d1, v32
	v_fmac_f32_e32 v125, 0x3f6eb680, v33
	s_delay_alu instid0(VALU_DEP_4) | instskip(NEXT) | instid1(VALU_DEP_4)
	v_add_f32_e32 v7, v8, v7
	v_dual_add_f32 v159, v8, v159 :: v_dual_add_f32 v132, v139, v132
	s_delay_alu instid0(VALU_DEP_2) | instskip(SKIP_1) | instid1(VALU_DEP_3)
	v_add_f32_e32 v7, v11, v7
	v_fma_f32 v11, 0x3dbcf732, v30, -v163
	v_dual_add_f32 v130, v130, v132 :: v_dual_fmac_f32 v163, 0x3dbcf732, v30
	s_delay_alu instid0(VALU_DEP_2) | instskip(SKIP_2) | instid1(VALU_DEP_4)
	v_add_f32_e32 v11, v11, v7
	v_dual_add_f32 v7, v10, v6 :: v_dual_mul_f32 v10, 0x3eb8f4ab, v24
	v_fma_f32 v145, 0x3ee437d1, v69, -v146
	v_add_f32_e32 v113, v131, v130
	s_delay_alu instid0(VALU_DEP_4)
	v_add_f32_e32 v11, v167, v11
	v_fma_f32 v167, 0x3f6eb680, v32, -v168
	v_fmac_f32_e32 v168, 0x3f6eb680, v32
	v_fmamk_f32 v6, v67, 0xbf7ba420, v166
	v_fmamk_f32 v170, v63, 0x3f6eb680, v10
	v_add_f32_e32 v16, v145, v16
	v_fma_f32 v145, 0xbf7ba420, v61, -v147
	s_delay_alu instid0(VALU_DEP_4) | instskip(SKIP_2) | instid1(VALU_DEP_4)
	v_dual_add_f32 v11, v167, v11 :: v_dual_add_f32 v6, v9, v6
	v_fma_f32 v167, 0xbf7ba420, v33, -v169
	v_fma_f32 v166, 0xbf7ba420, v67, -v166
	v_dual_add_f32 v145, v145, v16 :: v_dual_mul_f32 v182, 0xbf763a35, v110
	s_delay_alu instid0(VALU_DEP_4) | instskip(NEXT) | instid1(VALU_DEP_4)
	v_add_f32_e32 v6, v170, v6
	v_dual_fmamk_f32 v170, v68, 0xbf59a7d5, v171 :: v_dual_add_f32 v11, v167, v11
	s_delay_alu instid0(VALU_DEP_3) | instskip(SKIP_2) | instid1(VALU_DEP_4)
	v_add_f32_e32 v145, v149, v145
	v_fma_f32 v167, 0x3f3d2fb0, v34, -v172
	v_fma_f32 v184, 0xbe8c1d8e, v35, -v182
	v_add_f32_e32 v6, v170, v6
	v_fmamk_f32 v170, v69, 0x3f3d2fb0, v173
	v_fmac_f32_e32 v182, 0xbe8c1d8e, v35
	v_add_f32_e32 v11, v167, v11
	v_fma_f32 v167, 0xbf7ba420, v23, -v174
	s_delay_alu instid0(VALU_DEP_4) | instskip(SKIP_1) | instid1(VALU_DEP_3)
	v_dual_fmac_f32 v169, 0xbf7ba420, v33 :: v_dual_add_f32 v6, v170, v6
	v_fmamk_f32 v170, v61, 0xbf1a4643, v175
	v_dual_add_f32 v166, v9, v166 :: v_dual_add_f32 v167, v8, v167
	v_fma_f32 v10, 0x3f6eb680, v63, -v10
	v_fmac_f32_e32 v174, 0xbf7ba420, v23
	s_delay_alu instid0(VALU_DEP_4)
	v_add_f32_e32 v6, v170, v6
	v_fmamk_f32 v170, v70, 0x3ee437d1, v177
	v_add_f32_e32 v167, v178, v167
	v_fma_f32 v178, 0xbf59a7d5, v30, -v179
	v_add_f32_e32 v10, v10, v166
	v_fma_f32 v166, 0xbf59a7d5, v68, -v171
	v_add_f32_e32 v6, v170, v6
	s_delay_alu instid0(VALU_DEP_4) | instskip(SKIP_3) | instid1(VALU_DEP_4)
	v_dual_fmamk_f32 v170, v72, 0xbe8c1d8e, v180 :: v_dual_add_f32 v167, v178, v167
	v_fma_f32 v178, 0x3f3d2fb0, v31, -v181
	v_add_f32_e32 v171, v8, v174
	v_add_f32_e32 v166, v166, v10
	;; [unrolled: 1-line block ×5, first 2 shown]
	v_fma_f32 v178, 0xbf1a4643, v32, -v183
	v_mul_f32_e32 v184, 0x3f7ee86f, v110
	v_dual_add_f32 v11, v187, v170 :: v_dual_mul_f32 v170, 0xbf763a35, v111
	v_fma_f32 v173, 0x3f3d2fb0, v69, -v173
	s_delay_alu instid0(VALU_DEP_4) | instskip(SKIP_2) | instid1(VALU_DEP_4)
	v_add_f32_e32 v167, v178, v167
	v_fma_f32 v178, 0x3ee437d1, v33, -v186
	v_fma_f32 v174, 0x3dbcf732, v35, -v184
	v_dual_add_f32 v171, v176, v171 :: v_dual_add_f32 v166, v173, v166
	v_fmac_f32_e32 v179, 0xbf59a7d5, v30
	s_delay_alu instid0(VALU_DEP_4)
	v_add_f32_e32 v167, v178, v167
	v_fma_f32 v178, 0xbe8c1d8e, v34, -v170
	v_fma_f32 v13, 0x3dbcf732, v68, -v14
	v_fmac_f32_e32 v181, 0x3f3d2fb0, v31
	v_add_f32_e32 v171, v179, v171
	v_fmac_f32_e32 v183, 0xbf1a4643, v32
	s_delay_alu instid0(VALU_DEP_4) | instskip(SKIP_3) | instid1(VALU_DEP_4)
	v_dual_add_f32 v167, v178, v167 :: v_dual_add_f32 v12, v13, v12
	v_fma_f32 v13, 0xbf1a4643, v69, -v15
	v_fma_f32 v15, 0x3dbcf732, v107, -v185
	v_add_f32_e32 v171, v181, v171
	v_add_f32_e32 v10, v174, v167
	v_fma_f32 v167, 0xbf1a4643, v61, -v175
	v_mul_f32_e32 v175, 0xbf2c7751, v109
	v_mul_f32_e32 v174, 0x3ee437d1, v107
	v_add_f32_e32 v12, v13, v12
	v_fmac_f32_e32 v186, 0x3ee437d1, v33
	v_add_f32_e32 v166, v167, v166
	v_fma_f32 v167, 0x3ee437d1, v70, -v177
	v_fmac_f32_e32 v170, 0xbe8c1d8e, v34
	v_fmac_f32_e32 v184, 0x3dbcf732, v35
	;; [unrolled: 1-line block ×4, first 2 shown]
	v_add_f32_e32 v14, v167, v166
	v_fma_f32 v166, 0xbe8c1d8e, v72, -v180
	s_delay_alu instid0(VALU_DEP_4) | instskip(SKIP_1) | instid1(VALU_DEP_3)
	v_dual_add_f32 v167, v183, v171 :: v_dual_add_f32 v148, v8, v148
	v_mul_f32_e32 v131, 0xbf4c4adb, v74
	v_add_f32_e32 v14, v166, v14
	s_delay_alu instid0(VALU_DEP_3) | instskip(NEXT) | instid1(VALU_DEP_2)
	v_dual_add_f32 v166, v186, v167 :: v_dual_mul_f32 v167, 0x3f763a35, v78
	v_add_f32_e32 v13, v15, v14
	v_fma_f32 v144, 0x3f6eb680, v61, -v144
	v_fma_f32 v14, 0xbf7ba420, v70, -v160
	s_delay_alu instid0(VALU_DEP_4) | instskip(SKIP_1) | instid1(VALU_DEP_4)
	v_dual_add_f32 v15, v170, v166 :: v_dual_mul_f32 v160, 0xbf1a4643, v67
	v_mul_f32_e32 v170, 0xbeb8f4ab, v74
	v_add_f32_e32 v12, v144, v12
	v_add_f32_e32 v144, v161, v159
	v_fma_f32 v159, 0x3f3d2fb0, v72, -v162
	v_fma_f32 v161, 0xbe8c1d8e, v107, -v164
	v_mul_f32_e32 v164, 0x3f6eb680, v68
	v_add_f32_e32 v14, v14, v12
	v_add_f32_e32 v144, v163, v144
	v_add_f32_e32 v12, v184, v15
	v_fmamk_f32 v15, v36, 0x3f4c4adb, v160
	v_fmac_f32_e32 v160, 0xbf4c4adb, v36
	v_dual_add_f32 v14, v159, v14 :: v_dual_mul_f32 v159, 0xbe8c1d8e, v63
	v_add_f32_e32 v144, v165, v144
	s_delay_alu instid0(VALU_DEP_4) | instskip(SKIP_1) | instid1(VALU_DEP_4)
	v_add_f32_e32 v162, v9, v15
	v_dual_mul_f32 v63, 0x3f3d2fb0, v63 :: v_dual_add_f32 v66, v66, v9
	v_fmamk_f32 v163, v24, 0xbf763a35, v159
	s_delay_alu instid0(VALU_DEP_4) | instskip(SKIP_1) | instid1(VALU_DEP_3)
	v_dual_add_f32 v165, v168, v144 :: v_dual_mul_f32 v168, 0x3f3d2fb0, v70
	v_add_f32_e32 v15, v161, v14
	v_dual_fmamk_f32 v161, v25, 0x3eb8f4ab, v164 :: v_dual_add_f32 v14, v163, v162
	v_mul_f32_e32 v144, 0xbf59a7d5, v69
	v_dual_mul_f32 v163, 0xbf4c4adb, v76 :: v_dual_add_f32 v62, v62, v66
	v_add_f32_e32 v162, v169, v165
	s_delay_alu instid0(VALU_DEP_3) | instskip(SKIP_1) | instid1(VALU_DEP_4)
	v_dual_add_f32 v14, v161, v14 :: v_dual_fmamk_f32 v161, v26, 0x3f06c442, v144
	v_mul_f32_e32 v165, 0x3dbcf732, v61
	v_fmamk_f32 v166, v23, 0xbf1a4643, v163
	v_fmamk_f32 v171, v20, 0x3f2c7751, v168
	v_fmac_f32_e32 v172, 0x3f3d2fb0, v34
	v_add_f32_e32 v60, v60, v62
	v_dual_add_f32 v14, v161, v14 :: v_dual_fmamk_f32 v161, v27, 0xbf7ee86f, v165
	v_add_f32_e32 v166, v8, v166
	s_delay_alu instid0(VALU_DEP_4) | instskip(NEXT) | instid1(VALU_DEP_4)
	v_add_f32_e32 v162, v172, v162
	v_dual_fmamk_f32 v169, v28, 0xbe8c1d8e, v167 :: v_dual_add_f32 v58, v58, v60
	s_delay_alu instid0(VALU_DEP_4) | instskip(NEXT) | instid1(VALU_DEP_3)
	v_dual_add_f32 v161, v161, v14 :: v_dual_mul_f32 v172, 0xbf06c442, v75
	v_add_f32_e32 v14, v182, v162
	s_delay_alu instid0(VALU_DEP_3) | instskip(NEXT) | instid1(VALU_DEP_4)
	v_dual_add_f32 v166, v169, v166 :: v_dual_fmamk_f32 v169, v30, 0x3f6eb680, v170
	v_dual_add_f32 v57, v57, v58 :: v_dual_add_f32 v58, v8, v65
	s_delay_alu instid0(VALU_DEP_4) | instskip(NEXT) | instid1(VALU_DEP_3)
	v_dual_mul_f32 v162, 0xbf7ba420, v72 :: v_dual_add_f32 v161, v171, v161
	v_dual_add_f32 v166, v169, v166 :: v_dual_fmamk_f32 v169, v31, 0xbf59a7d5, v172
	v_mul_f32_e32 v171, 0x3f7ee86f, v77
	s_delay_alu instid0(VALU_DEP_4) | instskip(NEXT) | instid1(VALU_DEP_4)
	v_add_f32_e32 v47, v47, v58
	v_dual_fmamk_f32 v173, v21, 0x3e3c28d5, v162 :: v_dual_add_f32 v56, v56, v57
	s_delay_alu instid0(VALU_DEP_3) | instskip(NEXT) | instid1(VALU_DEP_2)
	v_dual_add_f32 v166, v169, v166 :: v_dual_fmamk_f32 v169, v32, 0x3dbcf732, v171
	v_dual_add_f32 v44, v44, v47 :: v_dual_add_f32 v161, v173, v161
	s_delay_alu instid0(VALU_DEP_3) | instskip(NEXT) | instid1(VALU_DEP_3)
	v_dual_fmamk_f32 v173, v22, 0xbf65296c, v174 :: v_dual_add_f32 v56, v71, v56
	v_add_f32_e32 v166, v169, v166
	v_fmamk_f32 v169, v33, 0x3f3d2fb0, v175
	v_mul_f32_e32 v47, 0xbf7ee86f, v75
	s_delay_alu instid0(VALU_DEP_4) | instskip(SKIP_4) | instid1(VALU_DEP_4)
	v_add_f32_e32 v17, v173, v161
	v_mul_f32_e32 v161, 0xbe3c28d5, v111
	v_fmac_f32_e32 v156, 0x3dbcf732, v33
	v_add_f32_e32 v166, v169, v166
	v_dual_mul_f32 v169, 0x3f65296c, v110 :: v_dual_add_f32 v56, v108, v56
	v_fmamk_f32 v146, v34, 0xbf7ba420, v161
	v_dual_add_f32 v44, v45, v44 :: v_dual_fmamk_f32 v45, v31, 0x3dbcf732, v47
	v_fmac_f32_e32 v150, 0xbf59a7d5, v28
	s_delay_alu instid0(VALU_DEP_3) | instskip(SKIP_2) | instid1(VALU_DEP_4)
	v_dual_fmamk_f32 v147, v35, 0x3ee437d1, v169 :: v_dual_add_f32 v146, v146, v166
	v_add_f32_e32 v56, v73, v56
	v_fmac_f32_e32 v152, 0x3f3d2fb0, v30
	v_add_f32_e32 v148, v150, v148
	v_add_f32_e32 v44, v52, v44
	s_delay_alu instid0(VALU_DEP_4) | instskip(SKIP_1) | instid1(VALU_DEP_4)
	v_dual_add_f32 v16, v147, v146 :: v_dual_add_f32 v49, v49, v56
	v_fmac_f32_e32 v142, 0x3dbcf732, v23
	v_add_f32_e32 v146, v152, v148
	v_mul_f32_e32 v57, 0xbf59a7d5, v72
	v_add_f32_e32 v44, v54, v44
	v_dual_mul_f32 v54, 0xbf7ba420, v107 :: v_dual_add_f32 v49, v51, v49
	s_delay_alu instid0(VALU_DEP_4) | instskip(SKIP_1) | instid1(VALU_DEP_3)
	v_add_f32_e32 v146, v154, v146
	v_add_f32_e32 v142, v8, v142
	v_dual_add_f32 v44, v55, v44 :: v_dual_fmamk_f32 v51, v22, 0x3e3c28d5, v54
	s_delay_alu instid0(VALU_DEP_3) | instskip(NEXT) | instid1(VALU_DEP_2)
	v_dual_add_f32 v49, v53, v49 :: v_dual_add_f32 v146, v155, v146
	v_dual_mul_f32 v55, 0xbf06c442, v111 :: v_dual_add_f32 v44, v59, v44
	v_fmac_f32_e32 v159, 0x3f763a35, v24
	s_delay_alu instid0(VALU_DEP_3) | instskip(SKIP_1) | instid1(VALU_DEP_4)
	v_dual_fmac_f32 v165, 0x3f7ee86f, v27 :: v_dual_add_f32 v140, v156, v146
	v_fmac_f32_e32 v168, 0xbf2c7751, v20
	v_add_f32_e32 v44, v48, v44
	v_add_f32_e32 v48, v9, v160
	v_fmac_f32_e32 v162, 0xbe3c28d5, v21
	v_dual_add_f32 v138, v157, v140 :: v_dual_mul_f32 v53, 0xbe3c28d5, v110
	v_add_f32_e32 v140, v143, v142
	v_add_f32_e32 v44, v50, v44
	;; [unrolled: 1-line block ×3, first 2 shown]
	v_mul_f32_e32 v70, 0xbf1a4643, v70
	s_delay_alu instid0(VALU_DEP_4) | instskip(NEXT) | instid1(VALU_DEP_4)
	v_dual_fmac_f32 v54, 0xbe3c28d5, v22 :: v_dual_add_f32 v133, v133, v140
	v_dual_add_f32 v43, v43, v44 :: v_dual_mul_f32 v74, 0xbf65296c, v74
	v_dual_fmac_f32 v158, 0xbf1a4643, v35 :: v_dual_add_f32 v41, v41, v49
	s_delay_alu instid0(VALU_DEP_2) | instskip(SKIP_3) | instid1(VALU_DEP_4)
	v_dual_add_f32 v133, v134, v133 :: v_dual_add_f32 v40, v40, v43
	v_mul_f32_e32 v134, 0x3f6eb680, v67
	v_fmamk_f32 v49, v35, 0xbf7ba420, v53
	v_fma_f32 v147, 0x3f6eb680, v72, -v151
	v_add_f32_e32 v132, v141, v133
	v_add_f32_e32 v29, v29, v40
	v_mul_f32_e32 v133, 0xbe3c28d5, v75
	s_delay_alu instid0(VALU_DEP_4) | instskip(NEXT) | instid1(VALU_DEP_4)
	v_add_f32_e32 v145, v147, v145
	v_add_f32_e32 v115, v135, v132
	s_delay_alu instid0(VALU_DEP_4) | instskip(SKIP_2) | instid1(VALU_DEP_4)
	v_dual_add_f32 v29, v38, v29 :: v_dual_mul_f32 v132, 0x3f6eb680, v107
	v_mul_f32_e32 v135, 0x3f06c442, v77
	v_fma_f32 v147, 0xbf1a4643, v107, -v153
	v_add_f32_e32 v115, v136, v115
	s_delay_alu instid0(VALU_DEP_4) | instskip(SKIP_1) | instid1(VALU_DEP_3)
	v_dual_add_f32 v29, v37, v29 :: v_dual_fmamk_f32 v136, v24, 0x3f2c7751, v63
	v_fmac_f32_e32 v63, 0xbf2c7751, v24
	v_dual_add_f32 v19, v147, v145 :: v_dual_add_f32 v112, v137, v115
	v_add_f32_e32 v115, v121, v117
	v_fmamk_f32 v117, v36, 0x3f2c7751, v126
	v_mul_f32_e32 v121, 0xbf1a4643, v68
	v_mul_f32_e32 v68, 0x3ee437d1, v68
	;; [unrolled: 1-line block ×3, first 2 shown]
	v_dual_add_f32 v115, v122, v115 :: v_dual_fmac_f32 v164, 0xbeb8f4ab, v25
	v_fma_f32 v122, 0xbf59a7d5, v107, -v123
	v_mul_f32_e32 v123, 0xbf7ba420, v69
	v_mul_f32_e32 v69, 0x3dbcf732, v69
	s_delay_alu instid0(VALU_DEP_4) | instskip(SKIP_3) | instid1(VALU_DEP_4)
	v_add_f32_e32 v115, v124, v115
	v_add_f32_e32 v44, v164, v48
	v_fmac_f32_e32 v144, 0xbf06c442, v26
	v_fmac_f32_e32 v126, 0xbf2c7751, v36
	v_dual_add_f32 v124, v125, v115 :: v_dual_add_f32 v115, v122, v114
	s_delay_alu instid0(VALU_DEP_3) | instskip(NEXT) | instid1(VALU_DEP_2)
	v_add_f32_e32 v43, v144, v44
	v_add_f32_e32 v122, v129, v124
	v_mul_f32_e32 v129, 0x3ee437d1, v72
	s_delay_alu instid0(VALU_DEP_3) | instskip(NEXT) | instid1(VALU_DEP_1)
	v_add_f32_e32 v43, v165, v43
	v_add_f32_e32 v43, v168, v43
	s_delay_alu instid0(VALU_DEP_1) | instskip(SKIP_1) | instid1(VALU_DEP_1)
	v_dual_add_f32 v43, v162, v43 :: v_dual_add_f32 v116, v9, v117
	v_fmamk_f32 v117, v24, 0x3f7ee86f, v118
	v_add_f32_e32 v116, v117, v116
	v_fmamk_f32 v117, v25, 0x3f4c4adb, v121
	s_delay_alu instid0(VALU_DEP_1) | instskip(SKIP_4) | instid1(VALU_DEP_3)
	v_dual_fmac_f32 v121, 0xbf4c4adb, v25 :: v_dual_add_f32 v114, v117, v116
	v_fmamk_f32 v116, v26, 0x3e3c28d5, v123
	v_mul_f32_e32 v117, 0xbf59a7d5, v61
	v_mul_f32_e32 v61, 0xbe8c1d8e, v61
	v_fmac_f32_e32 v123, 0xbe3c28d5, v26
	v_dual_add_f32 v116, v116, v114 :: v_dual_fmamk_f32 v125, v27, 0xbf06c442, v117
	s_delay_alu instid0(VALU_DEP_1) | instskip(SKIP_2) | instid1(VALU_DEP_2)
	v_dual_fmac_f32 v117, 0x3f06c442, v27 :: v_dual_add_f32 v116, v125, v116
	v_fmamk_f32 v125, v20, 0xbf763a35, v127
	v_fmac_f32_e32 v127, 0x3f763a35, v20
	v_add_f32_e32 v116, v125, v116
	v_fmamk_f32 v125, v21, 0xbf65296c, v129
	s_delay_alu instid0(VALU_DEP_1) | instskip(SKIP_1) | instid1(VALU_DEP_1)
	v_dual_fmac_f32 v129, 0x3f65296c, v21 :: v_dual_add_f32 v116, v125, v116
	v_fmamk_f32 v125, v22, 0xbeb8f4ab, v132
	v_dual_fmac_f32 v132, 0x3eb8f4ab, v22 :: v_dual_add_f32 v67, v125, v116
	v_fmamk_f32 v116, v36, 0x3eb8f4ab, v134
	v_fmamk_f32 v125, v32, 0xbf59a7d5, v135
	v_fmac_f32_e32 v134, 0xbeb8f4ab, v36
	s_delay_alu instid0(VALU_DEP_3) | instskip(NEXT) | instid1(VALU_DEP_1)
	v_add_f32_e32 v116, v9, v116
	v_add_f32_e32 v116, v136, v116
	v_fmamk_f32 v136, v25, 0x3f65296c, v68
	v_fmac_f32_e32 v68, 0xbf65296c, v25
	v_fma_f32 v25, 0xbf7ba420, v31, -v133
	s_delay_alu instid0(VALU_DEP_3) | instskip(SKIP_3) | instid1(VALU_DEP_3)
	v_add_f32_e32 v116, v136, v116
	v_fmamk_f32 v136, v26, 0x3f7ee86f, v69
	v_fmac_f32_e32 v69, 0xbf7ee86f, v26
	v_fmac_f32_e32 v128, 0xbf59a7d5, v35
	v_add_f32_e32 v66, v136, v116
	v_fmamk_f32 v116, v27, 0x3f763a35, v61
	v_fmac_f32_e32 v61, 0xbf763a35, v27
	v_mul_f32_e32 v124, 0xbf2c7751, v76
	v_add_f32_e32 v114, v128, v122
	v_mul_f32_e32 v128, 0xbf7ee86f, v78
	v_fmamk_f32 v136, v20, 0x3f4c4adb, v70
	v_fmac_f32_e32 v70, 0xbf4c4adb, v20
	v_fmamk_f32 v122, v23, 0x3f3d2fb0, v124
	v_mul_f32_e32 v76, 0xbeb8f4ab, v76
	v_fmamk_f32 v130, v28, 0x3dbcf732, v128
	v_add_f32_e32 v116, v116, v66
	s_delay_alu instid0(VALU_DEP_4) | instskip(NEXT) | instid1(VALU_DEP_4)
	v_add_f32_e32 v122, v8, v122
	v_fmamk_f32 v60, v23, 0x3f6eb680, v76
	s_delay_alu instid0(VALU_DEP_2) | instskip(SKIP_1) | instid1(VALU_DEP_3)
	v_add_f32_e32 v122, v130, v122
	v_fmamk_f32 v130, v30, 0xbf1a4643, v131
	v_add_f32_e32 v60, v8, v60
	s_delay_alu instid0(VALU_DEP_2) | instskip(SKIP_1) | instid1(VALU_DEP_1)
	v_add_f32_e32 v122, v130, v122
	v_fmamk_f32 v130, v31, 0xbf7ba420, v133
	v_add_f32_e32 v122, v130, v122
	v_mul_f32_e32 v130, 0x3f763a35, v109
	s_delay_alu instid0(VALU_DEP_2) | instskip(NEXT) | instid1(VALU_DEP_2)
	v_add_f32_e32 v122, v125, v122
	v_fmamk_f32 v125, v33, 0xbe8c1d8e, v130
	s_delay_alu instid0(VALU_DEP_1) | instskip(SKIP_2) | instid1(VALU_DEP_3)
	v_dual_add_f32 v122, v125, v122 :: v_dual_fmamk_f32 v125, v34, 0x3ee437d1, v137
	v_fmac_f32_e32 v174, 0x3f65296c, v22
	v_fma_f32 v22, 0xbf7ba420, v35, -v53
	v_add_f32_e32 v122, v125, v122
	v_mul_f32_e32 v125, 0x3eb8f4ab, v110
	s_delay_alu instid0(VALU_DEP_1) | instskip(NEXT) | instid1(VALU_DEP_1)
	v_fmamk_f32 v62, v35, 0x3f6eb680, v125
	v_add_f32_e32 v66, v62, v122
	v_mul_f32_e32 v62, 0xbf2c7751, v78
	v_add_f32_e32 v78, v136, v116
	s_delay_alu instid0(VALU_DEP_2) | instskip(NEXT) | instid1(VALU_DEP_1)
	v_fmamk_f32 v65, v28, 0x3f3d2fb0, v62
	v_add_f32_e32 v58, v65, v60
	v_fmamk_f32 v60, v30, 0x3ee437d1, v74
	v_fmamk_f32 v65, v21, 0x3f06c442, v57
	s_delay_alu instid0(VALU_DEP_2) | instskip(NEXT) | instid1(VALU_DEP_2)
	v_dual_fmac_f32 v57, 0xbf06c442, v21 :: v_dual_add_f32 v58, v60, v58
	v_dual_mul_f32 v60, 0xbf763a35, v77 :: v_dual_add_f32 v65, v65, v78
	s_delay_alu instid0(VALU_DEP_1) | instskip(SKIP_1) | instid1(VALU_DEP_1)
	v_dual_add_f32 v45, v45, v58 :: v_dual_fmamk_f32 v52, v32, 0xbe8c1d8e, v60
	v_mul_f32_e32 v58, 0xbf4c4adb, v109
	v_dual_add_f32 v45, v52, v45 :: v_dual_fmamk_f32 v52, v33, 0xbf1a4643, v58
	v_fma_f32 v20, 0xbf1a4643, v33, -v58
	s_delay_alu instid0(VALU_DEP_2) | instskip(NEXT) | instid1(VALU_DEP_1)
	v_dual_add_f32 v45, v52, v45 :: v_dual_fmamk_f32 v52, v34, 0xbf59a7d5, v55
	v_dual_add_f32 v18, v158, v138 :: v_dual_add_f32 v45, v52, v45
	v_add_f32_e32 v52, v42, v41
	v_add_f32_e32 v42, v51, v65
	s_delay_alu instid0(VALU_DEP_3) | instskip(SKIP_1) | instid1(VALU_DEP_1)
	v_add_f32_e32 v41, v49, v45
	v_fma_f32 v45, 0xbf1a4643, v23, -v163
	v_dual_add_f32 v39, v39, v52 :: v_dual_add_f32 v44, v8, v45
	v_fma_f32 v45, 0xbe8c1d8e, v28, -v167
	s_delay_alu instid0(VALU_DEP_2) | instskip(SKIP_1) | instid1(VALU_DEP_3)
	v_dual_add_f32 v39, v46, v39 :: v_dual_add_f32 v46, v9, v126
	v_add_f32_e32 v9, v9, v134
	v_add_f32_e32 v40, v45, v44
	v_fma_f32 v44, 0x3f6eb680, v30, -v170
	s_delay_alu instid0(VALU_DEP_1) | instskip(SKIP_1) | instid1(VALU_DEP_2)
	v_dual_add_f32 v9, v63, v9 :: v_dual_add_f32 v40, v44, v40
	v_fma_f32 v44, 0xbf59a7d5, v31, -v172
	v_add_f32_e32 v9, v68, v9
	s_delay_alu instid0(VALU_DEP_2) | instskip(SKIP_1) | instid1(VALU_DEP_3)
	v_add_f32_e32 v40, v44, v40
	v_fma_f32 v44, 0x3dbcf732, v32, -v171
	v_add_f32_e32 v9, v69, v9
	s_delay_alu instid0(VALU_DEP_2) | instskip(SKIP_1) | instid1(VALU_DEP_3)
	v_add_f32_e32 v37, v44, v40
	v_fma_f32 v40, 0x3f3d2fb0, v33, -v175
	v_add_f32_e32 v9, v61, v9
	s_delay_alu instid0(VALU_DEP_2) | instskip(SKIP_1) | instid1(VALU_DEP_3)
	v_dual_add_f32 v37, v40, v37 :: v_dual_fmac_f32 v118, 0xbf7ee86f, v24
	v_fma_f32 v40, 0xbf7ba420, v34, -v161
	v_add_f32_e32 v9, v70, v9
	s_delay_alu instid0(VALU_DEP_3) | instskip(NEXT) | instid1(VALU_DEP_3)
	v_add_f32_e32 v45, v118, v46
	v_add_f32_e32 v37, v40, v37
	v_fma_f32 v40, 0x3ee437d1, v35, -v169
	s_delay_alu instid0(VALU_DEP_3) | instskip(NEXT) | instid1(VALU_DEP_1)
	v_add_f32_e32 v38, v121, v45
	v_add_f32_e32 v38, v123, v38
	s_delay_alu instid0(VALU_DEP_1) | instskip(SKIP_3) | instid1(VALU_DEP_4)
	v_add_f32_e32 v44, v117, v38
	v_dual_add_f32 v38, v64, v29 :: v_dual_add_f32 v29, v174, v43
	v_fma_f32 v43, 0x3f3d2fb0, v23, -v124
	v_fma_f32 v23, 0x3f6eb680, v23, -v76
	v_add_f32_e32 v44, v127, v44
	ds_store_b64 v120, v[38:39]
	v_add_f32_e32 v36, v8, v43
	v_add_f32_e32 v8, v8, v23
	v_fma_f32 v23, 0x3f3d2fb0, v28, -v62
	v_fma_f32 v43, 0x3dbcf732, v28, -v128
	;; [unrolled: 1-line block ×3, first 2 shown]
	v_add_f32_e32 v44, v129, v44
	s_delay_alu instid0(VALU_DEP_4) | instskip(SKIP_2) | instid1(VALU_DEP_2)
	v_add_f32_e32 v8, v23, v8
	v_fma_f32 v23, 0x3ee437d1, v30, -v74
	v_add_f32_e32 v24, v43, v36
	v_add_f32_e32 v8, v23, v8
	v_fma_f32 v23, 0x3dbcf732, v31, -v47
	s_delay_alu instid0(VALU_DEP_3) | instskip(SKIP_1) | instid1(VALU_DEP_3)
	v_add_f32_e32 v24, v28, v24
	v_add_f32_e32 v28, v40, v37
	;; [unrolled: 1-line block ×3, first 2 shown]
	v_fma_f32 v23, 0xbe8c1d8e, v32, -v60
	s_delay_alu instid0(VALU_DEP_4) | instskip(SKIP_1) | instid1(VALU_DEP_3)
	v_add_f32_e32 v24, v25, v24
	v_fma_f32 v25, 0xbf59a7d5, v32, -v135
	v_add_f32_e32 v8, v23, v8
	s_delay_alu instid0(VALU_DEP_2) | instskip(SKIP_1) | instid1(VALU_DEP_3)
	v_add_f32_e32 v24, v25, v24
	v_fma_f32 v25, 0xbe8c1d8e, v33, -v130
	v_add_f32_e32 v8, v20, v8
	v_fma_f32 v20, 0xbf59a7d5, v34, -v55
	s_delay_alu instid0(VALU_DEP_3)
	v_add_f32_e32 v23, v25, v24
	v_fma_f32 v24, 0x3ee437d1, v34, -v137
	ds_store_2addr_b64 v79, v[41:42], v[66:67] offset0:52 offset1:104
	ds_store_2addr_b64 v79, v[114:115], v[112:113] offset0:156 offset1:208
	v_add_f32_e32 v20, v20, v8
	v_add_f32_e32 v21, v24, v23
	v_fma_f32 v23, 0x3f6eb680, v35, -v125
	v_add_f32_e32 v24, v57, v9
	s_delay_alu instid0(VALU_DEP_4) | instskip(SKIP_1) | instid1(VALU_DEP_4)
	v_add_f32_e32 v20, v22, v20
	v_dual_add_f32 v9, v132, v44 :: v_dual_add_nc_u32 v22, 0x800, v79
	v_dual_add_f32 v8, v23, v21 :: v_dual_add_nc_u32 v23, 0xc00, v79
	s_delay_alu instid0(VALU_DEP_4)
	v_dual_add_f32 v21, v54, v24 :: v_dual_add_nc_u32 v24, 0x1000, v79
	ds_store_2addr_b64 v22, v[18:19], v[16:17] offset0:4 offset1:56
	v_add_nc_u32_e32 v16, 0x1800, v79
	ds_store_2addr_b64 v22, v[14:15], v[12:13] offset0:108 offset1:160
	ds_store_2addr_b64 v23, v[10:11], v[6:7] offset0:84 offset1:136
	;; [unrolled: 1-line block ×5, first 2 shown]
.LBB0_17:
	s_wait_alu 0xfffe
	s_or_b32 exec_lo, exec_lo, s1
	global_wb scope:SCOPE_SE
	s_wait_dscnt 0x0
	s_barrier_signal -1
	s_barrier_wait -1
	global_inv scope:SCOPE_SE
	ds_load_2addr_b64 v[0:3], v120 offset1:68
	ds_load_b64 v[24:25], v79 offset:1632
	v_mad_co_u64_u32 v[20:21], null, s6, v80, 0
	v_mad_co_u64_u32 v[22:23], null, s4, v119, 0
	v_add_nc_u32_e32 v4, 0x400, v120
	v_add_nc_u32_e32 v15, 0x1000, v120
	;; [unrolled: 1-line block ×4, first 2 shown]
	s_mul_u64 s[0:1], s[4:5], 0x220
	s_wait_dscnt 0x1
	v_dual_mov_b32 v12, v21 :: v_dual_mul_f32 v17, v88, v1
	v_mul_f32_e32 v13, v88, v0
	v_mul_f32_e32 v18, v92, v3
	;; [unrolled: 1-line block ×3, first 2 shown]
	s_wait_dscnt 0x0
	v_mul_f32_e32 v37, v96, v24
	v_fmac_f32_e32 v17, v87, v0
	v_fma_f32 v0, v87, v1, -v13
	v_mov_b32_e32 v13, v23
	v_fmac_f32_e32 v18, v91, v2
	v_fma_f32 v1, v91, v3, -v19
	ds_load_2addr_b64 v[4:7], v4 offset0:8 offset1:144
	ds_load_2addr_b64 v[8:11], v8 offset0:84 offset1:152
	v_cvt_f64_f32_e32 v[28:29], v0
	v_mad_co_u64_u32 v[34:35], null, s7, v80, v[12:13]
	v_mad_co_u64_u32 v[35:36], null, s5, v119, v[13:14]
	v_cvt_f64_f32_e32 v[30:31], v18
	v_mul_f32_e32 v36, v96, v25
	v_cvt_f64_f32_e32 v[26:27], v17
	v_cvt_f64_f32_e32 v[32:33], v1
	ds_load_2addr_b64 v[0:3], v14 offset0:92 offset1:160
	v_dual_mov_b32 v21, v34 :: v_dual_add_nc_u32 v16, 0x1400, v120
	ds_load_2addr_b64 v[12:15], v15 offset0:100 offset1:168
	ds_load_2addr_b64 v[16:19], v16 offset0:108 offset1:176
	s_mov_b32 s6, 0x1288b013
	s_mov_b32 s7, 0x3f5288b0
	s_wait_dscnt 0x4
	v_dual_fmac_f32 v36, v95, v24 :: v_dual_mul_f32 v39, v84, v6
	v_fma_f32 v37, v95, v25, -v37
	v_dual_mov_b32 v23, v35 :: v_dual_mul_f32 v34, v82, v5
	v_dual_mul_f32 v35, v82, v4 :: v_dual_mul_f32 v38, v84, v7
	s_wait_dscnt 0x3
	v_mul_f32_e32 v40, v86, v9
	v_mul_f32_e32 v41, v86, v8
	v_fmac_f32_e32 v34, v81, v4
	v_fma_f32 v35, v81, v5, -v35
	v_cvt_f64_f32_e32 v[4:5], v36
	s_wait_dscnt 0x2
	v_mul_f32_e32 v47, v98, v2
	v_dual_mul_f32 v45, v94, v0 :: v_dual_fmac_f32 v38, v83, v6
	v_fma_f32 v36, v83, v7, -v39
	s_wait_dscnt 0x1
	v_mul_f32_e32 v48, v100, v13
	v_mul_f32_e32 v49, v100, v12
	v_dual_mul_f32 v51, v102, v14 :: v_dual_fmac_f32 v40, v85, v8
	v_cvt_f64_f32_e32 v[6:7], v34
	v_mul_f32_e32 v44, v94, v1
	v_mul_f32_e32 v46, v98, v3
	s_wait_dscnt 0x0
	v_mul_f32_e32 v55, v106, v18
	v_fma_f32 v39, v97, v3, -v47
	v_dual_mul_f32 v42, v90, v11 :: v_dual_mul_f32 v53, v104, v16
	v_fmac_f32_e32 v44, v93, v0
	s_wait_alu 0xfffe
	v_mul_f64_e32 v[24:25], s[6:7], v[26:27]
	v_mul_f64_e32 v[26:27], s[6:7], v[28:29]
	;; [unrolled: 1-line block ×4, first 2 shown]
	v_cvt_f64_f32_e32 v[32:33], v37
	v_fma_f32 v37, v85, v9, -v41
	v_cvt_f64_f32_e32 v[8:9], v35
	v_fma_f32 v35, v93, v1, -v45
	v_fmac_f32_e32 v46, v97, v2
	v_cvt_f64_f32_e32 v[0:1], v38
	v_cvt_f64_f32_e32 v[2:3], v36
	v_dual_mul_f32 v43, v90, v10 :: v_dual_mul_f32 v52, v104, v17
	v_mul_f32_e32 v50, v102, v15
	v_mul_f32_e32 v54, v106, v19
	v_fmac_f32_e32 v42, v89, v10
	s_delay_alu instid0(VALU_DEP_4)
	v_fma_f32 v34, v89, v11, -v43
	v_fmac_f32_e32 v48, v99, v12
	v_fma_f32 v41, v99, v13, -v49
	v_fmac_f32_e32 v50, v101, v14
	;; [unrolled: 2-line block ×4, first 2 shown]
	v_fma_f32 v51, v105, v19, -v55
	v_cvt_f64_f32_e32 v[10:11], v40
	v_cvt_f64_f32_e32 v[12:13], v37
	;; [unrolled: 1-line block ×7, first 2 shown]
	v_lshlrev_b64_e32 v[20:21], 3, v[20:21]
	v_mul_f64_e32 v[6:7], s[6:7], v[6:7]
	v_mul_f64_e32 v[4:5], s[6:7], v[4:5]
	v_lshlrev_b64_e32 v[22:23], 3, v[22:23]
	v_cvt_f32_f64_e32 v18, v[24:25]
	v_cvt_f32_f64_e32 v19, v[26:27]
	;; [unrolled: 1-line block ×3, first 2 shown]
	v_cvt_f64_f32_e32 v[26:27], v44
	v_cvt_f64_f32_e32 v[28:29], v35
	v_cvt_f32_f64_e32 v25, v[30:31]
	v_cvt_f64_f32_e32 v[30:31], v46
	v_cvt_f64_f32_e32 v[34:35], v39
	;; [unrolled: 1-line block ×7, first 2 shown]
	v_mul_f64_e32 v[8:9], s[6:7], v[8:9]
	v_add_co_u32 v52, vcc_lo, s2, v20
	s_wait_alu 0xfffd
	v_add_co_ci_u32_e32 v53, vcc_lo, s3, v21, vcc_lo
	v_mul_f64_e32 v[20:21], s[6:7], v[32:33]
	v_mul_f64_e32 v[0:1], s[6:7], v[0:1]
	;; [unrolled: 1-line block ×3, first 2 shown]
	v_add_co_u32 v22, vcc_lo, v52, v22
	s_wait_alu 0xfffd
	v_add_co_ci_u32_e32 v23, vcc_lo, v53, v23, vcc_lo
	v_mul_f64_e32 v[10:11], s[6:7], v[10:11]
	s_delay_alu instid0(VALU_DEP_3) | instskip(SKIP_1) | instid1(VALU_DEP_3)
	v_add_co_u32 v32, vcc_lo, v22, s0
	s_wait_alu 0xfffd
	v_add_co_ci_u32_e32 v33, vcc_lo, s1, v23, vcc_lo
	v_mul_f64_e32 v[12:13], s[6:7], v[12:13]
	v_mul_f64_e32 v[14:15], s[6:7], v[14:15]
	;; [unrolled: 1-line block ×3, first 2 shown]
	s_clause 0x1
	global_store_b64 v[22:23], v[18:19], off
	global_store_b64 v[32:33], v[24:25], off
	v_mul_f64_e32 v[18:19], s[6:7], v[26:27]
	v_mul_f64_e32 v[22:23], s[6:7], v[28:29]
	;; [unrolled: 1-line block ×12, first 2 shown]
	v_cvt_f32_f64_e32 v6, v[6:7]
	v_cvt_f32_f64_e32 v7, v[8:9]
	v_cvt_f32_f64_e32 v4, v[4:5]
	v_cvt_f32_f64_e32 v5, v[20:21]
	v_cvt_f32_f64_e32 v0, v[0:1]
	v_cvt_f32_f64_e32 v1, v[2:3]
	v_add_co_u32 v8, vcc_lo, v32, s0
	s_wait_alu 0xfffd
	v_add_co_ci_u32_e32 v9, vcc_lo, s1, v33, vcc_lo
	v_cvt_f32_f64_e32 v10, v[10:11]
	s_delay_alu instid0(VALU_DEP_3) | instskip(SKIP_1) | instid1(VALU_DEP_3)
	v_add_co_u32 v20, vcc_lo, v8, s0
	s_wait_alu 0xfffd
	v_add_co_ci_u32_e32 v21, vcc_lo, s1, v9, vcc_lo
	v_cvt_f32_f64_e32 v11, v[12:13]
	s_delay_alu instid0(VALU_DEP_3) | instskip(SKIP_1) | instid1(VALU_DEP_3)
	v_add_co_u32 v2, vcc_lo, v20, s0
	s_wait_alu 0xfffd
	v_add_co_ci_u32_e32 v3, vcc_lo, s1, v21, vcc_lo
	v_cvt_f32_f64_e32 v12, v[14:15]
	v_cvt_f32_f64_e32 v13, v[16:17]
	v_add_co_u32 v14, vcc_lo, v2, s0
	s_wait_alu 0xfffd
	v_add_co_ci_u32_e32 v15, vcc_lo, s1, v3, vcc_lo
	v_cvt_f32_f64_e32 v16, v[18:19]
	v_cvt_f32_f64_e32 v17, v[22:23]
	;; [unrolled: 1-line block ×12, first 2 shown]
	v_add_co_u32 v30, vcc_lo, v14, s0
	s_wait_alu 0xfffd
	v_add_co_ci_u32_e32 v31, vcc_lo, s1, v15, vcc_lo
	global_store_b64 v[8:9], v[6:7], off
	v_add_co_u32 v6, vcc_lo, v30, s0
	s_wait_alu 0xfffd
	v_add_co_ci_u32_e32 v7, vcc_lo, s1, v31, vcc_lo
	global_store_b64 v[20:21], v[4:5], off
	;; [unrolled: 4-line block ×7, first 2 shown]
	global_store_b64 v[0:1], v[22:23], off
	global_store_b64 v[2:3], v[24:25], off
	;; [unrolled: 1-line block ×4, first 2 shown]
.LBB0_18:
	s_nop 0
	s_sendmsg sendmsg(MSG_DEALLOC_VGPRS)
	s_endpgm
	.section	.rodata,"a",@progbits
	.p2align	6, 0x0
	.amdhsa_kernel bluestein_single_back_len884_dim1_sp_op_CI_CI
		.amdhsa_group_segment_fixed_size 21216
		.amdhsa_private_segment_fixed_size 136
		.amdhsa_kernarg_size 104
		.amdhsa_user_sgpr_count 2
		.amdhsa_user_sgpr_dispatch_ptr 0
		.amdhsa_user_sgpr_queue_ptr 0
		.amdhsa_user_sgpr_kernarg_segment_ptr 1
		.amdhsa_user_sgpr_dispatch_id 0
		.amdhsa_user_sgpr_private_segment_size 0
		.amdhsa_wavefront_size32 1
		.amdhsa_uses_dynamic_stack 0
		.amdhsa_enable_private_segment 1
		.amdhsa_system_sgpr_workgroup_id_x 1
		.amdhsa_system_sgpr_workgroup_id_y 0
		.amdhsa_system_sgpr_workgroup_id_z 0
		.amdhsa_system_sgpr_workgroup_info 0
		.amdhsa_system_vgpr_workitem_id 0
		.amdhsa_next_free_vgpr 256
		.amdhsa_next_free_sgpr 20
		.amdhsa_reserve_vcc 1
		.amdhsa_float_round_mode_32 0
		.amdhsa_float_round_mode_16_64 0
		.amdhsa_float_denorm_mode_32 3
		.amdhsa_float_denorm_mode_16_64 3
		.amdhsa_fp16_overflow 0
		.amdhsa_workgroup_processor_mode 1
		.amdhsa_memory_ordered 1
		.amdhsa_forward_progress 0
		.amdhsa_round_robin_scheduling 0
		.amdhsa_exception_fp_ieee_invalid_op 0
		.amdhsa_exception_fp_denorm_src 0
		.amdhsa_exception_fp_ieee_div_zero 0
		.amdhsa_exception_fp_ieee_overflow 0
		.amdhsa_exception_fp_ieee_underflow 0
		.amdhsa_exception_fp_ieee_inexact 0
		.amdhsa_exception_int_div_zero 0
	.end_amdhsa_kernel
	.text
.Lfunc_end0:
	.size	bluestein_single_back_len884_dim1_sp_op_CI_CI, .Lfunc_end0-bluestein_single_back_len884_dim1_sp_op_CI_CI
                                        ; -- End function
	.section	.AMDGPU.csdata,"",@progbits
; Kernel info:
; codeLenInByte = 24232
; NumSgprs: 22
; NumVgprs: 256
; ScratchSize: 136
; MemoryBound: 0
; FloatMode: 240
; IeeeMode: 1
; LDSByteSize: 21216 bytes/workgroup (compile time only)
; SGPRBlocks: 2
; VGPRBlocks: 31
; NumSGPRsForWavesPerEU: 22
; NumVGPRsForWavesPerEU: 256
; Occupancy: 5
; WaveLimiterHint : 1
; COMPUTE_PGM_RSRC2:SCRATCH_EN: 1
; COMPUTE_PGM_RSRC2:USER_SGPR: 2
; COMPUTE_PGM_RSRC2:TRAP_HANDLER: 0
; COMPUTE_PGM_RSRC2:TGID_X_EN: 1
; COMPUTE_PGM_RSRC2:TGID_Y_EN: 0
; COMPUTE_PGM_RSRC2:TGID_Z_EN: 0
; COMPUTE_PGM_RSRC2:TIDIG_COMP_CNT: 0
	.text
	.p2alignl 7, 3214868480
	.fill 96, 4, 3214868480
	.type	__hip_cuid_36ff8f1477fb4d7,@object ; @__hip_cuid_36ff8f1477fb4d7
	.section	.bss,"aw",@nobits
	.globl	__hip_cuid_36ff8f1477fb4d7
__hip_cuid_36ff8f1477fb4d7:
	.byte	0                               ; 0x0
	.size	__hip_cuid_36ff8f1477fb4d7, 1

	.ident	"AMD clang version 19.0.0git (https://github.com/RadeonOpenCompute/llvm-project roc-6.4.0 25133 c7fe45cf4b819c5991fe208aaa96edf142730f1d)"
	.section	".note.GNU-stack","",@progbits
	.addrsig
	.addrsig_sym __hip_cuid_36ff8f1477fb4d7
	.amdgpu_metadata
---
amdhsa.kernels:
  - .args:
      - .actual_access:  read_only
        .address_space:  global
        .offset:         0
        .size:           8
        .value_kind:     global_buffer
      - .actual_access:  read_only
        .address_space:  global
        .offset:         8
        .size:           8
        .value_kind:     global_buffer
      - .actual_access:  read_only
        .address_space:  global
        .offset:         16
        .size:           8
        .value_kind:     global_buffer
      - .actual_access:  read_only
        .address_space:  global
        .offset:         24
        .size:           8
        .value_kind:     global_buffer
      - .actual_access:  read_only
        .address_space:  global
        .offset:         32
        .size:           8
        .value_kind:     global_buffer
      - .offset:         40
        .size:           8
        .value_kind:     by_value
      - .address_space:  global
        .offset:         48
        .size:           8
        .value_kind:     global_buffer
      - .address_space:  global
        .offset:         56
        .size:           8
        .value_kind:     global_buffer
      - .address_space:  global
        .offset:         64
        .size:           8
        .value_kind:     global_buffer
      - .address_space:  global
        .offset:         72
        .size:           8
        .value_kind:     global_buffer
      - .offset:         80
        .size:           4
        .value_kind:     by_value
      - .address_space:  global
        .offset:         88
        .size:           8
        .value_kind:     global_buffer
      - .address_space:  global
        .offset:         96
        .size:           8
        .value_kind:     global_buffer
    .group_segment_fixed_size: 21216
    .kernarg_segment_align: 8
    .kernarg_segment_size: 104
    .language:       OpenCL C
    .language_version:
      - 2
      - 0
    .max_flat_workgroup_size: 204
    .name:           bluestein_single_back_len884_dim1_sp_op_CI_CI
    .private_segment_fixed_size: 136
    .sgpr_count:     22
    .sgpr_spill_count: 0
    .symbol:         bluestein_single_back_len884_dim1_sp_op_CI_CI.kd
    .uniform_work_group_size: 1
    .uses_dynamic_stack: false
    .vgpr_count:     256
    .vgpr_spill_count: 33
    .wavefront_size: 32
    .workgroup_processor_mode: 1
amdhsa.target:   amdgcn-amd-amdhsa--gfx1201
amdhsa.version:
  - 1
  - 2
...

	.end_amdgpu_metadata
